;; amdgpu-corpus repo=ROCm/rocFFT kind=compiled arch=gfx906 opt=O3
	.text
	.amdgcn_target "amdgcn-amd-amdhsa--gfx906"
	.amdhsa_code_object_version 6
	.protected	fft_rtc_back_len1782_factors_11_3_3_3_3_2_wgs_99_tpt_99_halfLds_sp_ip_CI_unitstride_sbrr_C2R_dirReg ; -- Begin function fft_rtc_back_len1782_factors_11_3_3_3_3_2_wgs_99_tpt_99_halfLds_sp_ip_CI_unitstride_sbrr_C2R_dirReg
	.globl	fft_rtc_back_len1782_factors_11_3_3_3_3_2_wgs_99_tpt_99_halfLds_sp_ip_CI_unitstride_sbrr_C2R_dirReg
	.p2align	8
	.type	fft_rtc_back_len1782_factors_11_3_3_3_3_2_wgs_99_tpt_99_halfLds_sp_ip_CI_unitstride_sbrr_C2R_dirReg,@function
fft_rtc_back_len1782_factors_11_3_3_3_3_2_wgs_99_tpt_99_halfLds_sp_ip_CI_unitstride_sbrr_C2R_dirReg: ; @fft_rtc_back_len1782_factors_11_3_3_3_3_2_wgs_99_tpt_99_halfLds_sp_ip_CI_unitstride_sbrr_C2R_dirReg
; %bb.0:
	s_load_dwordx2 s[2:3], s[4:5], 0x50
	s_load_dwordx4 s[8:11], s[4:5], 0x0
	s_load_dwordx2 s[12:13], s[4:5], 0x18
	v_mul_u32_u24_e32 v1, 0x296, v0
	v_add_u32_sdwa v5, s6, v1 dst_sel:DWORD dst_unused:UNUSED_PAD src0_sel:DWORD src1_sel:WORD_1
	v_mov_b32_e32 v3, 0
	s_waitcnt lgkmcnt(0)
	v_cmp_lt_u64_e64 s[0:1], s[10:11], 2
	v_mov_b32_e32 v1, 0
	v_mov_b32_e32 v6, v3
	s_and_b64 vcc, exec, s[0:1]
	v_mov_b32_e32 v2, 0
	s_cbranch_vccnz .LBB0_8
; %bb.1:
	s_load_dwordx2 s[0:1], s[4:5], 0x10
	s_add_u32 s6, s12, 8
	s_addc_u32 s7, s13, 0
	v_mov_b32_e32 v1, 0
	v_mov_b32_e32 v2, 0
	s_waitcnt lgkmcnt(0)
	s_add_u32 s14, s0, 8
	s_addc_u32 s15, s1, 0
	s_mov_b64 s[16:17], 1
.LBB0_2:                                ; =>This Inner Loop Header: Depth=1
	s_load_dwordx2 s[18:19], s[14:15], 0x0
                                        ; implicit-def: $vgpr7_vgpr8
	s_waitcnt lgkmcnt(0)
	v_or_b32_e32 v4, s19, v6
	v_cmp_ne_u64_e32 vcc, 0, v[3:4]
	s_and_saveexec_b64 s[0:1], vcc
	s_xor_b64 s[20:21], exec, s[0:1]
	s_cbranch_execz .LBB0_4
; %bb.3:                                ;   in Loop: Header=BB0_2 Depth=1
	v_cvt_f32_u32_e32 v4, s18
	v_cvt_f32_u32_e32 v7, s19
	s_sub_u32 s0, 0, s18
	s_subb_u32 s1, 0, s19
	v_mac_f32_e32 v4, 0x4f800000, v7
	v_rcp_f32_e32 v4, v4
	v_mul_f32_e32 v4, 0x5f7ffffc, v4
	v_mul_f32_e32 v7, 0x2f800000, v4
	v_trunc_f32_e32 v7, v7
	v_mac_f32_e32 v4, 0xcf800000, v7
	v_cvt_u32_f32_e32 v7, v7
	v_cvt_u32_f32_e32 v4, v4
	v_mul_lo_u32 v8, s0, v7
	v_mul_hi_u32 v9, s0, v4
	v_mul_lo_u32 v11, s1, v4
	v_mul_lo_u32 v10, s0, v4
	v_add_u32_e32 v8, v9, v8
	v_add_u32_e32 v8, v8, v11
	v_mul_hi_u32 v9, v4, v10
	v_mul_lo_u32 v11, v4, v8
	v_mul_hi_u32 v13, v4, v8
	v_mul_hi_u32 v12, v7, v10
	v_mul_lo_u32 v10, v7, v10
	v_mul_hi_u32 v14, v7, v8
	v_add_co_u32_e32 v9, vcc, v9, v11
	v_addc_co_u32_e32 v11, vcc, 0, v13, vcc
	v_mul_lo_u32 v8, v7, v8
	v_add_co_u32_e32 v9, vcc, v9, v10
	v_addc_co_u32_e32 v9, vcc, v11, v12, vcc
	v_addc_co_u32_e32 v10, vcc, 0, v14, vcc
	v_add_co_u32_e32 v8, vcc, v9, v8
	v_addc_co_u32_e32 v9, vcc, 0, v10, vcc
	v_add_co_u32_e32 v4, vcc, v4, v8
	v_addc_co_u32_e32 v7, vcc, v7, v9, vcc
	v_mul_lo_u32 v8, s0, v7
	v_mul_hi_u32 v9, s0, v4
	v_mul_lo_u32 v10, s1, v4
	v_mul_lo_u32 v11, s0, v4
	v_add_u32_e32 v8, v9, v8
	v_add_u32_e32 v8, v8, v10
	v_mul_lo_u32 v12, v4, v8
	v_mul_hi_u32 v13, v4, v11
	v_mul_hi_u32 v14, v4, v8
	;; [unrolled: 1-line block ×3, first 2 shown]
	v_mul_lo_u32 v11, v7, v11
	v_mul_hi_u32 v9, v7, v8
	v_add_co_u32_e32 v12, vcc, v13, v12
	v_addc_co_u32_e32 v13, vcc, 0, v14, vcc
	v_mul_lo_u32 v8, v7, v8
	v_add_co_u32_e32 v11, vcc, v12, v11
	v_addc_co_u32_e32 v10, vcc, v13, v10, vcc
	v_addc_co_u32_e32 v9, vcc, 0, v9, vcc
	v_add_co_u32_e32 v8, vcc, v10, v8
	v_addc_co_u32_e32 v9, vcc, 0, v9, vcc
	v_add_co_u32_e32 v4, vcc, v4, v8
	v_addc_co_u32_e32 v9, vcc, v7, v9, vcc
	v_mad_u64_u32 v[7:8], s[0:1], v5, v9, 0
	v_mul_hi_u32 v10, v5, v4
	v_add_co_u32_e32 v11, vcc, v10, v7
	v_addc_co_u32_e32 v12, vcc, 0, v8, vcc
	v_mad_u64_u32 v[7:8], s[0:1], v6, v4, 0
	v_mad_u64_u32 v[9:10], s[0:1], v6, v9, 0
	v_add_co_u32_e32 v4, vcc, v11, v7
	v_addc_co_u32_e32 v4, vcc, v12, v8, vcc
	v_addc_co_u32_e32 v7, vcc, 0, v10, vcc
	v_add_co_u32_e32 v4, vcc, v4, v9
	v_addc_co_u32_e32 v9, vcc, 0, v7, vcc
	v_mul_lo_u32 v10, s19, v4
	v_mul_lo_u32 v11, s18, v9
	v_mad_u64_u32 v[7:8], s[0:1], s18, v4, 0
	v_add3_u32 v8, v8, v11, v10
	v_sub_u32_e32 v10, v6, v8
	v_mov_b32_e32 v11, s19
	v_sub_co_u32_e32 v7, vcc, v5, v7
	v_subb_co_u32_e64 v10, s[0:1], v10, v11, vcc
	v_subrev_co_u32_e64 v11, s[0:1], s18, v7
	v_subbrev_co_u32_e64 v10, s[0:1], 0, v10, s[0:1]
	v_cmp_le_u32_e64 s[0:1], s19, v10
	v_cndmask_b32_e64 v12, 0, -1, s[0:1]
	v_cmp_le_u32_e64 s[0:1], s18, v11
	v_cndmask_b32_e64 v11, 0, -1, s[0:1]
	v_cmp_eq_u32_e64 s[0:1], s19, v10
	v_cndmask_b32_e64 v10, v12, v11, s[0:1]
	v_add_co_u32_e64 v11, s[0:1], 2, v4
	v_addc_co_u32_e64 v12, s[0:1], 0, v9, s[0:1]
	v_add_co_u32_e64 v13, s[0:1], 1, v4
	v_addc_co_u32_e64 v14, s[0:1], 0, v9, s[0:1]
	v_subb_co_u32_e32 v8, vcc, v6, v8, vcc
	v_cmp_ne_u32_e64 s[0:1], 0, v10
	v_cmp_le_u32_e32 vcc, s19, v8
	v_cndmask_b32_e64 v10, v14, v12, s[0:1]
	v_cndmask_b32_e64 v12, 0, -1, vcc
	v_cmp_le_u32_e32 vcc, s18, v7
	v_cndmask_b32_e64 v7, 0, -1, vcc
	v_cmp_eq_u32_e32 vcc, s19, v8
	v_cndmask_b32_e32 v7, v12, v7, vcc
	v_cmp_ne_u32_e32 vcc, 0, v7
	v_cndmask_b32_e64 v7, v13, v11, s[0:1]
	v_cndmask_b32_e32 v8, v9, v10, vcc
	v_cndmask_b32_e32 v7, v4, v7, vcc
.LBB0_4:                                ;   in Loop: Header=BB0_2 Depth=1
	s_andn2_saveexec_b64 s[0:1], s[20:21]
	s_cbranch_execz .LBB0_6
; %bb.5:                                ;   in Loop: Header=BB0_2 Depth=1
	v_cvt_f32_u32_e32 v4, s18
	s_sub_i32 s20, 0, s18
	v_rcp_iflag_f32_e32 v4, v4
	v_mul_f32_e32 v4, 0x4f7ffffe, v4
	v_cvt_u32_f32_e32 v4, v4
	v_mul_lo_u32 v7, s20, v4
	v_mul_hi_u32 v7, v4, v7
	v_add_u32_e32 v4, v4, v7
	v_mul_hi_u32 v4, v5, v4
	v_mul_lo_u32 v7, v4, s18
	v_add_u32_e32 v8, 1, v4
	v_sub_u32_e32 v7, v5, v7
	v_subrev_u32_e32 v9, s18, v7
	v_cmp_le_u32_e32 vcc, s18, v7
	v_cndmask_b32_e32 v7, v7, v9, vcc
	v_cndmask_b32_e32 v4, v4, v8, vcc
	v_add_u32_e32 v8, 1, v4
	v_cmp_le_u32_e32 vcc, s18, v7
	v_cndmask_b32_e32 v7, v4, v8, vcc
	v_mov_b32_e32 v8, v3
.LBB0_6:                                ;   in Loop: Header=BB0_2 Depth=1
	s_or_b64 exec, exec, s[0:1]
	v_mul_lo_u32 v4, v8, s18
	v_mul_lo_u32 v11, v7, s19
	v_mad_u64_u32 v[9:10], s[0:1], v7, s18, 0
	s_load_dwordx2 s[0:1], s[6:7], 0x0
	s_add_u32 s16, s16, 1
	v_add3_u32 v4, v10, v11, v4
	v_sub_co_u32_e32 v5, vcc, v5, v9
	v_subb_co_u32_e32 v4, vcc, v6, v4, vcc
	s_waitcnt lgkmcnt(0)
	v_mul_lo_u32 v4, s0, v4
	v_mul_lo_u32 v6, s1, v5
	v_mad_u64_u32 v[1:2], s[0:1], s0, v5, v[1:2]
	s_addc_u32 s17, s17, 0
	s_add_u32 s6, s6, 8
	v_add3_u32 v2, v6, v2, v4
	v_mov_b32_e32 v4, s10
	v_mov_b32_e32 v5, s11
	s_addc_u32 s7, s7, 0
	v_cmp_ge_u64_e32 vcc, s[16:17], v[4:5]
	s_add_u32 s14, s14, 8
	s_addc_u32 s15, s15, 0
	s_cbranch_vccnz .LBB0_9
; %bb.7:                                ;   in Loop: Header=BB0_2 Depth=1
	v_mov_b32_e32 v5, v7
	v_mov_b32_e32 v6, v8
	s_branch .LBB0_2
.LBB0_8:
	v_mov_b32_e32 v8, v6
	v_mov_b32_e32 v7, v5
.LBB0_9:
	s_lshl_b64 s[0:1], s[10:11], 3
	s_add_u32 s0, s12, s0
	s_addc_u32 s1, s13, s1
	s_load_dwordx2 s[6:7], s[0:1], 0x0
	s_load_dwordx2 s[10:11], s[4:5], 0x20
                                        ; implicit-def: $vgpr44
	s_waitcnt lgkmcnt(0)
	v_mad_u64_u32 v[3:4], s[0:1], s6, v7, v[1:2]
	s_mov_b32 s0, 0x295fad5
	v_mul_lo_u32 v5, s6, v8
	v_mul_lo_u32 v6, s7, v7
	v_mul_hi_u32 v1, v0, s0
	v_cmp_gt_u64_e64 s[0:1], s[10:11], v[7:8]
	v_mov_b32_e32 v2, 0
	v_add3_u32 v4, v6, v4, v5
	v_mul_u32_u24_e32 v1, 0x63, v1
	v_sub_u32_e32 v1, v0, v1
	v_lshlrev_b64 v[46:47], 3, v[3:4]
	v_mov_b32_e32 v52, v1
	s_and_saveexec_b64 s[4:5], s[0:1]
	s_cbranch_execz .LBB0_13
; %bb.10:
	v_mov_b32_e32 v0, s3
	v_add_co_u32_e32 v4, vcc, s2, v46
	v_lshlrev_b64 v[5:6], 3, v[1:2]
	v_addc_co_u32_e32 v0, vcc, v0, v47, vcc
	v_add_co_u32_e32 v5, vcc, v4, v5
	v_addc_co_u32_e32 v6, vcc, v0, v6, vcc
	s_movk_i32 s6, 0x1000
	v_add_co_u32_e32 v9, vcc, s6, v5
	v_addc_co_u32_e32 v10, vcc, 0, v6, vcc
	s_movk_i32 s6, 0x2000
	v_add_co_u32_e32 v25, vcc, s6, v5
	v_addc_co_u32_e32 v26, vcc, 0, v6, vcc
	global_load_dwordx2 v[7:8], v[5:6], off offset:2376
	global_load_dwordx2 v[11:12], v[5:6], off offset:3168
	;; [unrolled: 1-line block ×5, first 2 shown]
	global_load_dwordx2 v[19:20], v[5:6], off
	global_load_dwordx2 v[21:22], v[5:6], off offset:1584
	global_load_dwordx2 v[23:24], v[5:6], off offset:792
	v_add_co_u32_e32 v5, vcc, 0x3000, v5
	v_addc_co_u32_e32 v6, vcc, 0, v6, vcc
	global_load_dwordx2 v[27:28], v[9:10], off offset:2240
	global_load_dwordx2 v[29:30], v[9:10], off offset:3032
	;; [unrolled: 1-line block ×9, first 2 shown]
	s_nop 0
	global_load_dwordx2 v[25:26], v[5:6], off offset:1176
	v_lshl_add_u32 v3, v1, 3, 0
	v_add_u32_e32 v5, 0x400, v3
	s_movk_i32 s6, 0x62
	v_add_u32_e32 v6, 0x800, v3
	v_add_u32_e32 v43, 0x1000, v3
	;; [unrolled: 1-line block ×7, first 2 shown]
	v_cmp_eq_u32_e32 vcc, s6, v1
	s_waitcnt vmcnt(11)
	ds_write2_b64 v5, v[21:22], v[7:8] offset0:70 offset1:169
	ds_write2_b64 v6, v[11:12], v[13:14] offset0:140 offset1:239
	s_waitcnt vmcnt(10)
	ds_write2_b64 v3, v[19:20], v[23:24] offset1:99
	ds_write2_b64 v43, v[15:16], v[17:18] offset0:82 offset1:181
	s_waitcnt vmcnt(8)
	ds_write2_b64 v44, v[27:28], v[29:30] offset0:24 offset1:123
	s_waitcnt vmcnt(6)
	;; [unrolled: 2-line block ×5, first 2 shown]
	ds_write2_b64 v50, v[9:10], v[25:26] offset0:48 offset1:147
	v_mov_b32_e32 v3, v2
	v_mov_b32_e32 v2, v1
	s_and_saveexec_b64 s[6:7], vcc
	s_cbranch_execz .LBB0_12
; %bb.11:
	v_add_co_u32_e32 v1, vcc, 0x3000, v4
	v_addc_co_u32_e32 v2, vcc, 0, v0, vcc
	global_load_dwordx2 v[0:1], v[1:2], off offset:1968
	v_mov_b32_e32 v4, 0
	v_mov_b32_e32 v2, 0x62
	v_mov_b32_e32 v3, 0
	s_waitcnt vmcnt(0)
	ds_write_b64 v4, v[0:1] offset:14256
	v_mov_b32_e32 v1, 0x62
.LBB0_12:
	s_or_b64 exec, exec, s[6:7]
	v_mov_b32_e32 v52, v1
	v_mov_b32_e32 v1, v2
	;; [unrolled: 1-line block ×4, first 2 shown]
.LBB0_13:
	s_or_b64 exec, exec, s[4:5]
	v_lshlrev_b32_e32 v0, 3, v52
	v_add_u32_e32 v45, 0, v0
	s_waitcnt lgkmcnt(0)
	s_barrier
	v_sub_u32_e32 v3, 0, v0
	ds_read_b32 v4, v45
	ds_read_b32 v5, v3 offset:14256
	s_add_u32 s6, s8, 0x3758
	v_lshlrev_b64 v[48:49], 3, v[1:2]
	s_addc_u32 s7, s9, 0
	v_cmp_ne_u32_e32 vcc, 0, v52
	s_waitcnt lgkmcnt(0)
	v_add_f32_e32 v0, v5, v4
	v_sub_f32_e32 v1, v4, v5
	s_and_saveexec_b64 s[4:5], vcc
	s_xor_b64 s[4:5], exec, s[4:5]
	s_cbranch_execz .LBB0_15
; %bb.14:
	v_mov_b32_e32 v1, s7
	v_add_co_u32_e32 v0, vcc, s6, v48
	v_addc_co_u32_e32 v1, vcc, v1, v49, vcc
	global_load_dwordx2 v[6:7], v[0:1], off
	ds_read_b32 v0, v3 offset:14260
	ds_read_b32 v1, v45 offset:4
	v_add_f32_e32 v2, v5, v4
	v_sub_f32_e32 v8, v4, v5
	s_waitcnt lgkmcnt(0)
	v_add_f32_e32 v9, v0, v1
	v_sub_f32_e32 v0, v1, v0
	s_waitcnt vmcnt(0)
	v_fma_f32 v4, -v8, v7, v2
	v_fma_f32 v5, v9, v7, -v0
	v_fma_f32 v10, v8, v7, v2
	v_fma_f32 v1, v9, v7, v0
	v_fmac_f32_e32 v4, v6, v9
	v_fmac_f32_e32 v5, v8, v6
	v_fma_f32 v0, -v6, v9, v10
	v_fmac_f32_e32 v1, v8, v6
	ds_write_b64 v3, v[4:5] offset:14256
.LBB0_15:
	s_andn2_saveexec_b64 s[4:5], s[4:5]
	s_cbranch_execz .LBB0_17
; %bb.16:
	v_mov_b32_e32 v2, 0
	ds_read_b64 v[4:5], v2 offset:7128
	s_waitcnt lgkmcnt(0)
	v_add_f32_e32 v4, v4, v4
	v_mul_f32_e32 v5, -2.0, v5
	ds_write_b64 v2, v[4:5] offset:7128
.LBB0_17:
	s_or_b64 exec, exec, s[4:5]
	v_mov_b32_e32 v53, 0
	v_lshlrev_b64 v[50:51], 3, v[52:53]
	v_mov_b32_e32 v2, s7
	v_add_co_u32_e32 v4, vcc, s6, v50
	v_addc_co_u32_e32 v5, vcc, v2, v51, vcc
	global_load_dwordx2 v[6:7], v[4:5], off offset:792
	global_load_dwordx2 v[8:9], v[4:5], off offset:1584
	;; [unrolled: 1-line block ×4, first 2 shown]
	ds_write_b64 v45, v[0:1]
	ds_read_b64 v[0:1], v45 offset:792
	ds_read_b64 v[14:15], v3 offset:13464
	global_load_dwordx2 v[16:17], v[4:5], off offset:3960
	s_movk_i32 s6, 0x1000
	v_add_co_u32_e32 v4, vcc, s6, v4
	s_waitcnt lgkmcnt(0)
	v_add_f32_e32 v2, v0, v14
	v_add_f32_e32 v18, v15, v1
	v_sub_f32_e32 v19, v0, v14
	v_sub_f32_e32 v0, v1, v15
	v_addc_co_u32_e32 v5, vcc, 0, v5, vcc
	v_add_u32_e32 v60, 0x400, v45
	v_add_u32_e32 v58, 0x800, v45
	;; [unrolled: 1-line block ×7, first 2 shown]
	s_mov_b32 s11, 0x3f575c64
	s_mov_b32 s12, 0x3ed4b147
	s_mov_b32 s13, 0xbe11bafb
	s_mov_b32 s14, 0xbf27a4f4
	s_mov_b32 s15, 0xbf75a155
	s_movk_i32 s4, 0x58
	s_movk_i32 s10, 0x2000
	;; [unrolled: 1-line block ×3, first 2 shown]
	v_cmp_gt_u32_e32 vcc, 63, v52
	s_waitcnt vmcnt(4)
	v_fma_f32 v20, v19, v7, v2
	v_fma_f32 v1, v18, v7, v0
	v_fma_f32 v14, -v19, v7, v2
	v_fma_f32 v15, v18, v7, -v0
	v_fma_f32 v0, -v6, v18, v20
	v_fmac_f32_e32 v1, v19, v6
	v_fmac_f32_e32 v14, v6, v18
	v_fmac_f32_e32 v15, v19, v6
	ds_write_b64 v45, v[0:1] offset:792
	ds_write_b64 v3, v[14:15] offset:13464
	ds_read_b64 v[0:1], v45 offset:1584
	ds_read_b64 v[6:7], v3 offset:12672
	global_load_dwordx2 v[14:15], v[4:5], off offset:656
	s_waitcnt lgkmcnt(0)
	v_add_f32_e32 v2, v0, v6
	v_add_f32_e32 v18, v7, v1
	v_sub_f32_e32 v19, v0, v6
	v_sub_f32_e32 v0, v1, v7
	s_waitcnt vmcnt(4)
	v_fma_f32 v20, v19, v9, v2
	v_fma_f32 v1, v18, v9, v0
	v_fma_f32 v6, -v19, v9, v2
	v_fma_f32 v7, v18, v9, -v0
	v_fma_f32 v0, -v8, v18, v20
	v_fmac_f32_e32 v1, v19, v8
	v_fmac_f32_e32 v6, v8, v18
	v_fmac_f32_e32 v7, v19, v8
	ds_write_b64 v45, v[0:1] offset:1584
	ds_write_b64 v3, v[6:7] offset:12672
	ds_read_b64 v[0:1], v45 offset:2376
	ds_read_b64 v[6:7], v3 offset:11880
	global_load_dwordx2 v[8:9], v[4:5], off offset:1448
	s_waitcnt lgkmcnt(0)
	v_add_f32_e32 v2, v0, v6
	v_add_f32_e32 v18, v7, v1
	v_sub_f32_e32 v19, v0, v6
	v_sub_f32_e32 v0, v1, v7
	;; [unrolled: 19-line block ×3, first 2 shown]
	s_waitcnt vmcnt(4)
	v_fma_f32 v18, v11, v13, v2
	v_fma_f32 v1, v10, v13, v0
	v_fma_f32 v6, -v11, v13, v2
	v_fma_f32 v7, v10, v13, -v0
	v_fma_f32 v0, -v12, v10, v18
	v_fmac_f32_e32 v1, v11, v12
	v_fmac_f32_e32 v6, v12, v10
	v_fmac_f32_e32 v7, v11, v12
	ds_write_b64 v45, v[0:1] offset:3168
	ds_write_b64 v3, v[6:7] offset:11088
	ds_read_b64 v[0:1], v45 offset:3960
	ds_read_b64 v[6:7], v3 offset:10296
	s_waitcnt lgkmcnt(0)
	v_add_f32_e32 v2, v0, v6
	v_add_f32_e32 v10, v7, v1
	v_sub_f32_e32 v11, v0, v6
	v_sub_f32_e32 v0, v1, v7
	s_waitcnt vmcnt(3)
	v_fma_f32 v12, v11, v17, v2
	v_fma_f32 v1, v10, v17, v0
	v_fma_f32 v6, -v11, v17, v2
	v_fma_f32 v7, v10, v17, -v0
	v_fma_f32 v0, -v16, v10, v12
	v_fmac_f32_e32 v1, v11, v16
	v_fmac_f32_e32 v6, v16, v10
	v_fmac_f32_e32 v7, v11, v16
	ds_write_b64 v45, v[0:1] offset:3960
	ds_write_b64 v3, v[6:7] offset:10296
	ds_read_b64 v[0:1], v45 offset:4752
	ds_read_b64 v[6:7], v3 offset:9504
	s_waitcnt lgkmcnt(0)
	v_add_f32_e32 v2, v0, v6
	v_add_f32_e32 v10, v7, v1
	v_sub_f32_e32 v11, v0, v6
	v_sub_f32_e32 v0, v1, v7
	;; [unrolled: 18-line block ×4, first 2 shown]
	s_waitcnt vmcnt(0)
	v_fma_f32 v10, v9, v5, v2
	v_fma_f32 v1, v8, v5, v0
	v_fma_f32 v6, -v9, v5, v2
	v_fma_f32 v7, v8, v5, -v0
	v_fma_f32 v0, -v4, v8, v10
	v_fmac_f32_e32 v1, v9, v4
	v_fmac_f32_e32 v6, v4, v8
	;; [unrolled: 1-line block ×3, first 2 shown]
	ds_write_b64 v45, v[0:1] offset:6336
	ds_write_b64 v3, v[6:7] offset:7920
	s_waitcnt lgkmcnt(0)
	s_barrier
	s_barrier
	ds_read2_b64 v[0:3], v45 offset1:99
	ds_read2_b64 v[40:43], v60 offset0:34 offset1:133
	ds_read2_b64 v[36:39], v58 offset0:68 offset1:167
	v_add_u32_e32 v4, 0xc00, v45
	ds_read2_b64 v[32:35], v4 offset0:102 offset1:201
	ds_read2_b64 v[28:31], v57 offset0:136 offset1:235
	;; [unrolled: 1-line block ×4, first 2 shown]
	v_add_u32_e32 v4, 0x2000, v45
	s_waitcnt lgkmcnt(5)
	v_add_f32_e32 v55, v1, v41
	ds_read2_b64 v[16:19], v4 offset0:110 offset1:209
	v_add_f32_e32 v54, v0, v40
	s_waitcnt lgkmcnt(5)
	v_add_f32_e32 v55, v55, v37
	ds_read2_b64 v[12:15], v59 offset0:16 offset1:115
	v_add_u32_e32 v4, 0x2c00, v45
	v_add_f32_e32 v54, v54, v36
	s_waitcnt lgkmcnt(5)
	v_add_f32_e32 v55, v55, v33
	ds_read2_b64 v[4:7], v4 offset0:50 offset1:149
	v_add_f32_e32 v54, v54, v32
	s_waitcnt lgkmcnt(5)
	v_add_f32_e32 v55, v55, v29
	ds_read2_b64 v[8:11], v62 offset0:84 offset1:183
	v_add_f32_e32 v54, v54, v28
	s_waitcnt lgkmcnt(5)
	v_add_f32_e32 v55, v55, v25
	v_add_f32_e32 v54, v54, v24
	s_waitcnt lgkmcnt(4)
	v_add_f32_e32 v55, v55, v21
	;; [unrolled: 3-line block ×6, first 2 shown]
	v_add_f32_e32 v64, v9, v41
	v_sub_f32_e32 v9, v41, v9
	v_add_f32_e32 v54, v54, v8
	v_add_f32_e32 v63, v8, v40
	v_sub_f32_e32 v8, v40, v8
	v_mul_f32_e32 v40, 0xbf0a6770, v9
	v_mul_f32_e32 v67, 0xbf68dda4, v9
	;; [unrolled: 1-line block ×5, first 2 shown]
	v_mov_b32_e32 v41, v40
	v_mov_b32_e32 v68, v67
	;; [unrolled: 1-line block ×5, first 2 shown]
	v_fmac_f32_e32 v41, 0x3f575c64, v63
	v_mul_f32_e32 v65, 0x3f575c64, v64
	v_fma_f32 v40, v63, s11, -v40
	v_fmac_f32_e32 v68, 0x3ed4b147, v63
	v_mul_f32_e32 v69, 0x3ed4b147, v64
	v_fma_f32 v67, v63, s12, -v67
	;; [unrolled: 3-line block ×5, first 2 shown]
	v_add_f32_e32 v41, v0, v41
	v_mov_b32_e32 v66, v65
	v_add_f32_e32 v40, v0, v40
	v_add_f32_e32 v68, v0, v68
	v_mov_b32_e32 v70, v69
	v_add_f32_e32 v67, v0, v67
	;; [unrolled: 3-line block ×5, first 2 shown]
	v_add_f32_e32 v9, v5, v37
	v_sub_f32_e32 v5, v37, v5
	v_fmac_f32_e32 v66, 0x3f0a6770, v8
	v_fmac_f32_e32 v65, 0xbf0a6770, v8
	;; [unrolled: 1-line block ×10, first 2 shown]
	v_add_f32_e32 v8, v4, v36
	v_sub_f32_e32 v4, v36, v4
	v_mul_f32_e32 v36, 0xbf68dda4, v5
	v_mov_b32_e32 v37, v36
	v_fmac_f32_e32 v37, 0x3ed4b147, v8
	v_add_f32_e32 v37, v37, v41
	v_mul_f32_e32 v41, 0x3ed4b147, v9
	v_add_f32_e32 v65, v1, v65
	v_mov_b32_e32 v63, v41
	v_fma_f32 v36, v8, s12, -v36
	v_fmac_f32_e32 v41, 0xbf68dda4, v4
	v_add_f32_e32 v36, v36, v40
	v_add_f32_e32 v40, v41, v65
	v_mul_f32_e32 v41, 0xbf4178ce, v5
	v_add_f32_e32 v66, v1, v66
	v_add_f32_e32 v70, v1, v70
	;; [unrolled: 1-line block ×9, first 2 shown]
	v_mov_b32_e32 v64, v41
	v_fma_f32 v41, v8, s14, -v41
	v_fmac_f32_e32 v63, 0x3f68dda4, v4
	v_fmac_f32_e32 v64, 0xbf27a4f4, v8
	v_mul_f32_e32 v65, 0xbf27a4f4, v9
	v_add_f32_e32 v41, v41, v67
	v_mul_f32_e32 v67, 0x3e903f40, v5
	v_add_f32_e32 v63, v63, v66
	v_add_f32_e32 v64, v64, v68
	v_mov_b32_e32 v66, v65
	v_fmac_f32_e32 v65, 0xbf4178ce, v4
	v_mov_b32_e32 v68, v67
	v_fma_f32 v67, v8, s15, -v67
	v_fmac_f32_e32 v66, 0x3f4178ce, v4
	v_add_f32_e32 v65, v65, v69
	v_fmac_f32_e32 v68, 0xbf75a155, v8
	v_mul_f32_e32 v69, 0xbf75a155, v9
	v_add_f32_e32 v67, v67, v71
	v_mul_f32_e32 v71, 0x3f7d64f0, v5
	v_add_f32_e32 v66, v66, v70
	v_add_f32_e32 v68, v68, v72
	v_mov_b32_e32 v70, v69
	v_fmac_f32_e32 v69, 0x3e903f40, v4
	v_mov_b32_e32 v72, v71
	v_add_f32_e32 v69, v69, v73
	v_fmac_f32_e32 v72, 0xbe11bafb, v8
	v_mul_f32_e32 v73, 0xbe11bafb, v9
	v_mul_f32_e32 v9, 0x3f575c64, v9
	v_fmac_f32_e32 v70, 0xbe903f40, v4
	v_add_f32_e32 v72, v72, v76
	v_fma_f32 v71, v8, s13, -v71
	v_mul_f32_e32 v5, 0x3f0a6770, v5
	v_mov_b32_e32 v76, v9
	v_fmac_f32_e32 v9, 0x3f0a6770, v4
	v_add_f32_e32 v70, v70, v74
	v_mov_b32_e32 v74, v73
	v_add_f32_e32 v71, v71, v75
	v_mov_b32_e32 v75, v5
	v_add_f32_e32 v1, v9, v1
	v_sub_f32_e32 v9, v33, v13
	v_fmac_f32_e32 v74, 0xbf7d64f0, v4
	v_fmac_f32_e32 v73, 0x3f7d64f0, v4
	;; [unrolled: 1-line block ×4, first 2 shown]
	v_fma_f32 v5, v8, s11, -v5
	v_add_f32_e32 v4, v12, v32
	v_sub_f32_e32 v8, v32, v12
	v_mul_f32_e32 v12, 0xbf7d64f0, v9
	v_add_f32_e32 v0, v5, v0
	v_add_f32_e32 v5, v13, v33
	v_mov_b32_e32 v13, v12
	v_fma_f32 v12, v4, s13, -v12
	v_fmac_f32_e32 v13, 0xbe11bafb, v4
	v_mul_f32_e32 v32, 0xbe11bafb, v5
	v_add_f32_e32 v12, v12, v36
	v_mul_f32_e32 v36, 0x3e903f40, v9
	v_add_f32_e32 v13, v13, v37
	v_mov_b32_e32 v33, v32
	v_fmac_f32_e32 v32, 0xbf7d64f0, v8
	v_mov_b32_e32 v37, v36
	v_fma_f32 v36, v4, s15, -v36
	v_fmac_f32_e32 v33, 0x3f7d64f0, v8
	v_add_f32_e32 v32, v32, v40
	v_fmac_f32_e32 v37, 0xbf75a155, v4
	v_mul_f32_e32 v40, 0xbf75a155, v5
	v_add_f32_e32 v36, v36, v41
	v_mul_f32_e32 v41, 0x3f68dda4, v9
	v_add_f32_e32 v33, v33, v63
	v_add_f32_e32 v37, v37, v64
	v_mov_b32_e32 v63, v40
	v_fmac_f32_e32 v40, 0x3e903f40, v8
	v_mov_b32_e32 v64, v41
	v_fma_f32 v41, v4, s12, -v41
	v_fmac_f32_e32 v63, 0xbe903f40, v8
	v_add_f32_e32 v40, v40, v65
	v_fmac_f32_e32 v64, 0x3ed4b147, v4
	v_mul_f32_e32 v65, 0x3ed4b147, v5
	v_add_f32_e32 v41, v41, v67
	v_mul_f32_e32 v67, 0xbf0a6770, v9
	v_add_f32_e32 v63, v63, v66
	v_add_f32_e32 v64, v64, v68
	v_mov_b32_e32 v66, v65
	v_fmac_f32_e32 v65, 0x3f68dda4, v8
	v_mov_b32_e32 v68, v67
	v_fma_f32 v67, v4, s11, -v67
	v_mul_f32_e32 v9, 0xbf4178ce, v9
	v_fmac_f32_e32 v66, 0xbf68dda4, v8
	v_add_f32_e32 v65, v65, v69
	v_fmac_f32_e32 v68, 0x3f575c64, v4
	v_mul_f32_e32 v69, 0x3f575c64, v5
	v_add_f32_e32 v67, v67, v71
	v_mov_b32_e32 v71, v9
	v_mul_f32_e32 v5, 0xbf27a4f4, v5
	v_add_f32_e32 v66, v66, v70
	v_add_f32_e32 v68, v68, v72
	v_mov_b32_e32 v70, v69
	v_fmac_f32_e32 v71, 0xbf27a4f4, v4
	v_mov_b32_e32 v72, v5
	v_fma_f32 v4, v4, s14, -v9
	v_sub_f32_e32 v9, v29, v17
	v_fmac_f32_e32 v70, 0x3f0a6770, v8
	v_fmac_f32_e32 v69, 0xbf0a6770, v8
	v_fmac_f32_e32 v72, 0x3f4178ce, v8
	v_add_f32_e32 v0, v4, v0
	v_fmac_f32_e32 v5, 0xbf4178ce, v8
	v_add_f32_e32 v4, v16, v28
	v_sub_f32_e32 v8, v28, v16
	v_mul_f32_e32 v16, 0xbf4178ce, v9
	v_add_f32_e32 v1, v5, v1
	v_add_f32_e32 v5, v17, v29
	v_mov_b32_e32 v17, v16
	v_fmac_f32_e32 v17, 0xbf27a4f4, v4
	v_add_f32_e32 v13, v17, v13
	v_mul_f32_e32 v17, 0xbf27a4f4, v5
	v_mov_b32_e32 v28, v17
	v_fma_f32 v16, v4, s14, -v16
	v_fmac_f32_e32 v17, 0xbf4178ce, v8
	v_add_f32_e32 v12, v16, v12
	v_add_f32_e32 v16, v17, v32
	v_mul_f32_e32 v17, 0x3f7d64f0, v9
	v_mov_b32_e32 v29, v17
	v_fma_f32 v17, v4, s13, -v17
	v_fmac_f32_e32 v28, 0x3f4178ce, v8
	v_fmac_f32_e32 v29, 0xbe11bafb, v4
	v_mul_f32_e32 v32, 0xbe11bafb, v5
	v_add_f32_e32 v17, v17, v36
	v_mul_f32_e32 v36, 0xbf0a6770, v9
	v_add_f32_e32 v28, v28, v33
	v_add_f32_e32 v29, v29, v37
	v_mov_b32_e32 v33, v32
	v_fmac_f32_e32 v32, 0x3f7d64f0, v8
	v_mov_b32_e32 v37, v36
	v_fma_f32 v36, v4, s11, -v36
	v_fmac_f32_e32 v33, 0xbf7d64f0, v8
	v_add_f32_e32 v32, v32, v40
	v_fmac_f32_e32 v37, 0x3f575c64, v4
	v_mul_f32_e32 v40, 0x3f575c64, v5
	v_add_f32_e32 v36, v36, v41
	v_mul_f32_e32 v41, 0xbe903f40, v9
	v_add_f32_e32 v33, v33, v63
	v_add_f32_e32 v37, v37, v64
	v_mov_b32_e32 v63, v40
	v_fmac_f32_e32 v40, 0xbf0a6770, v8
	v_mov_b32_e32 v64, v41
	v_add_f32_e32 v40, v40, v65
	v_fmac_f32_e32 v64, 0xbf75a155, v4
	v_mul_f32_e32 v65, 0xbf75a155, v5
	v_fma_f32 v41, v4, s15, -v41
	v_mul_f32_e32 v9, 0x3f68dda4, v9
	v_mul_f32_e32 v5, 0x3ed4b147, v5
	v_add_f32_e32 v74, v74, v78
	v_add_f32_e32 v73, v73, v77
	;; [unrolled: 1-line block ×4, first 2 shown]
	v_fmac_f32_e32 v63, 0x3f0a6770, v8
	v_add_f32_e32 v64, v64, v68
	v_add_f32_e32 v41, v41, v67
	v_mov_b32_e32 v67, v9
	v_mov_b32_e32 v68, v5
	v_add_f32_e32 v70, v70, v74
	v_add_f32_e32 v69, v69, v73
	;; [unrolled: 1-line block ×5, first 2 shown]
	v_mov_b32_e32 v66, v65
	v_fmac_f32_e32 v65, 0xbe903f40, v8
	v_fmac_f32_e32 v67, 0x3ed4b147, v4
	;; [unrolled: 1-line block ×3, first 2 shown]
	v_fma_f32 v4, v4, s12, -v9
	v_sub_f32_e32 v74, v25, v21
	v_fmac_f32_e32 v66, 0x3e903f40, v8
	v_add_f32_e32 v65, v65, v69
	v_add_f32_e32 v67, v67, v71
	;; [unrolled: 1-line block ×4, first 2 shown]
	v_fmac_f32_e32 v5, 0x3f68dda4, v8
	v_add_f32_e32 v71, v20, v24
	v_add_f32_e32 v72, v21, v25
	v_mul_f32_e32 v4, 0xbe903f40, v74
	v_add_f32_e32 v66, v66, v70
	v_add_f32_e32 v70, v5, v1
	v_sub_f32_e32 v73, v24, v20
	v_mov_b32_e32 v0, v4
	v_mul_f32_e32 v5, 0xbf75a155, v72
	v_fma_f32 v4, v71, s15, -v4
	v_fmac_f32_e32 v0, 0xbf75a155, v71
	v_mov_b32_e32 v1, v5
	v_add_f32_e32 v4, v4, v12
	v_fmac_f32_e32 v5, 0xbe903f40, v73
	v_mul_f32_e32 v12, 0x3f0a6770, v74
	v_mul_f32_e32 v20, 0xbf4178ce, v74
	v_add_f32_e32 v0, v0, v13
	v_add_f32_e32 v5, v5, v16
	v_mov_b32_e32 v8, v12
	v_mul_f32_e32 v13, 0x3f575c64, v72
	v_mov_b32_e32 v16, v20
	v_fmac_f32_e32 v1, 0x3e903f40, v73
	v_fmac_f32_e32 v8, 0x3f575c64, v71
	v_mov_b32_e32 v9, v13
	v_fmac_f32_e32 v16, 0xbf27a4f4, v71
	v_fma_f32 v20, v71, s14, -v20
	v_add_f32_e32 v1, v1, v28
	v_add_f32_e32 v8, v8, v29
	v_fmac_f32_e32 v9, 0xbf0a6770, v73
	v_fma_f32 v12, v71, s11, -v12
	v_fmac_f32_e32 v13, 0x3f0a6770, v73
	v_add_f32_e32 v16, v16, v37
	v_mul_f32_e32 v21, 0xbf27a4f4, v72
	v_add_f32_e32 v20, v20, v36
	v_mul_f32_e32 v28, 0x3f68dda4, v74
	v_mul_f32_e32 v29, 0x3ed4b147, v72
	;; [unrolled: 1-line block ×4, first 2 shown]
	v_add_f32_e32 v9, v9, v33
	v_add_f32_e32 v12, v12, v17
	;; [unrolled: 1-line block ×3, first 2 shown]
	v_mov_b32_e32 v17, v21
	v_fmac_f32_e32 v21, 0xbf4178ce, v73
	v_mov_b32_e32 v24, v28
	v_mov_b32_e32 v25, v29
	v_mov_b32_e32 v32, v36
	v_mov_b32_e32 v33, v37
	v_fmac_f32_e32 v17, 0x3f4178ce, v73
	v_add_f32_e32 v21, v21, v40
	v_fmac_f32_e32 v24, 0x3ed4b147, v71
	v_fmac_f32_e32 v25, 0xbf68dda4, v73
	v_fma_f32 v28, v71, s12, -v28
	v_fmac_f32_e32 v29, 0x3f68dda4, v73
	v_fmac_f32_e32 v32, 0xbe11bafb, v71
	;; [unrolled: 1-line block ×3, first 2 shown]
	v_fma_f32 v36, v71, s13, -v36
	v_fmac_f32_e32 v37, 0xbf7d64f0, v73
	v_mad_u32_u24 v40, v52, s4, 0
	v_add_f32_e32 v17, v17, v63
	v_add_f32_e32 v24, v24, v64
	;; [unrolled: 1-line block ×9, first 2 shown]
	s_barrier
	ds_write2_b64 v40, v[54:55], v[0:1] offset1:1
	ds_write2_b64 v40, v[8:9], v[16:17] offset0:2 offset1:3
	ds_write2_b64 v40, v[24:25], v[32:33] offset0:4 offset1:5
	;; [unrolled: 1-line block ×4, first 2 shown]
	ds_write_b64 v40, v[4:5] offset:80
	s_and_saveexec_b64 s[4:5], vcc
	s_cbranch_execz .LBB0_19
; %bb.18:
	v_add_f32_e32 v33, v11, v43
	v_mul_f32_e32 v20, 0xbf75a155, v33
	v_add_f32_e32 v36, v7, v39
	v_sub_f32_e32 v4, v42, v10
	v_mov_b32_e32 v0, v20
	v_mul_f32_e32 v24, 0x3f575c64, v36
	v_fmac_f32_e32 v0, 0x3e903f40, v4
	v_sub_f32_e32 v5, v38, v6
	v_mov_b32_e32 v1, v24
	v_add_f32_e32 v37, v15, v35
	v_add_f32_e32 v0, v3, v0
	v_fmac_f32_e32 v1, 0xbf0a6770, v5
	v_mul_f32_e32 v25, 0xbf27a4f4, v37
	v_add_f32_e32 v0, v1, v0
	v_sub_f32_e32 v8, v34, v14
	v_mov_b32_e32 v1, v25
	v_add_f32_e32 v40, v19, v31
	v_fmac_f32_e32 v1, 0x3f4178ce, v8
	v_mul_f32_e32 v28, 0x3ed4b147, v40
	v_add_f32_e32 v0, v1, v0
	v_sub_f32_e32 v9, v30, v18
	v_mov_b32_e32 v1, v28
	;; [unrolled: 6-line block ×3, first 2 shown]
	v_sub_f32_e32 v54, v43, v11
	v_fmac_f32_e32 v1, 0x3f7d64f0, v12
	v_mul_f32_e32 v29, 0xbe903f40, v54
	v_sub_f32_e32 v55, v39, v7
	v_add_f32_e32 v1, v1, v0
	v_add_f32_e32 v13, v10, v42
	v_mov_b32_e32 v0, v29
	v_mul_f32_e32 v32, 0x3f0a6770, v55
	v_fmac_f32_e32 v0, 0xbf75a155, v13
	v_add_f32_e32 v16, v6, v38
	v_mov_b32_e32 v17, v32
	v_sub_f32_e32 v63, v35, v15
	v_add_f32_e32 v0, v2, v0
	v_fmac_f32_e32 v17, 0x3f575c64, v16
	v_mul_f32_e32 v64, 0xbf4178ce, v63
	v_add_f32_e32 v0, v17, v0
	v_add_f32_e32 v17, v14, v34
	;; [unrolled: 1-line block ×3, first 2 shown]
	v_mov_b32_e32 v65, v64
	v_sub_f32_e32 v66, v31, v19
	v_add_f32_e32 v43, v3, v43
	v_fmac_f32_e32 v65, 0xbf27a4f4, v17
	v_add_f32_e32 v38, v42, v38
	v_mul_f32_e32 v42, 0x3f68dda4, v66
	v_add_f32_e32 v0, v65, v0
	v_add_f32_e32 v65, v18, v30
	;; [unrolled: 1-line block ×3, first 2 shown]
	v_mov_b32_e32 v43, v42
	v_sub_f32_e32 v67, v27, v23
	v_fmac_f32_e32 v43, 0x3ed4b147, v65
	v_mul_f32_e32 v68, 0xbf7d64f0, v67
	v_add_f32_e32 v0, v43, v0
	v_add_f32_e32 v43, v22, v26
	v_mov_b32_e32 v69, v68
	v_fmac_f32_e32 v69, 0xbe11bafb, v43
	v_add_f32_e32 v0, v69, v0
	v_mul_f32_e32 v69, 0xbf27a4f4, v33
	v_add_f32_e32 v35, v39, v35
	v_add_f32_e32 v34, v38, v34
	v_mov_b32_e32 v38, v69
	v_mul_f32_e32 v39, 0xbe11bafb, v36
	v_fmac_f32_e32 v38, 0x3f4178ce, v4
	v_mov_b32_e32 v70, v39
	v_add_f32_e32 v38, v3, v38
	v_fmac_f32_e32 v70, 0xbf7d64f0, v5
	v_add_f32_e32 v38, v70, v38
	v_mul_f32_e32 v70, 0x3f575c64, v37
	v_mov_b32_e32 v71, v70
	v_fmac_f32_e32 v71, 0x3f0a6770, v8
	v_add_f32_e32 v38, v71, v38
	v_mul_f32_e32 v71, 0xbf75a155, v40
	v_mov_b32_e32 v72, v71
	v_fmac_f32_e32 v72, 0x3e903f40, v9
	v_add_f32_e32 v30, v34, v30
	v_mul_f32_e32 v34, 0xbf4178ce, v54
	v_add_f32_e32 v38, v72, v38
	v_add_f32_e32 v31, v35, v31
	v_mov_b32_e32 v35, v34
	v_mul_f32_e32 v72, 0x3f7d64f0, v55
	v_fmac_f32_e32 v35, 0xbf27a4f4, v13
	v_mov_b32_e32 v73, v72
	v_mul_f32_e32 v74, 0xbf0a6770, v63
	v_add_f32_e32 v35, v2, v35
	v_fmac_f32_e32 v73, 0xbe11bafb, v16
	v_add_f32_e32 v30, v30, v26
	v_mov_b32_e32 v26, v74
	v_add_f32_e32 v35, v73, v35
	v_fmac_f32_e32 v26, 0x3f575c64, v17
	v_add_f32_e32 v26, v26, v35
	v_mul_f32_e32 v35, 0xbe903f40, v66
	v_add_f32_e32 v31, v31, v27
	v_mov_b32_e32 v27, v35
	v_mul_f32_e32 v73, 0x3ed4b147, v41
	v_fmac_f32_e32 v27, 0xbf75a155, v65
	v_add_f32_e32 v22, v30, v22
	v_add_f32_e32 v26, v27, v26
	v_mov_b32_e32 v27, v73
	v_add_f32_e32 v23, v31, v23
	v_add_f32_e32 v18, v22, v18
	v_fmac_f32_e32 v27, 0xbf68dda4, v12
	v_add_f32_e32 v19, v23, v19
	v_add_f32_e32 v18, v18, v14
	v_mul_f32_e32 v83, 0x3ed4b147, v33
	v_add_f32_e32 v27, v27, v38
	v_mul_f32_e32 v38, 0x3f68dda4, v67
	v_add_f32_e32 v19, v19, v15
	v_add_f32_e32 v6, v18, v6
	v_mov_b32_e32 v18, v83
	v_mul_f32_e32 v84, 0xbf27a4f4, v36
	v_mov_b32_e32 v75, v38
	v_add_f32_e32 v7, v19, v7
	v_fmac_f32_e32 v18, 0x3f68dda4, v4
	v_mov_b32_e32 v19, v84
	v_fmac_f32_e32 v75, 0x3ed4b147, v43
	v_add_f32_e32 v18, v3, v18
	v_fmac_f32_e32 v19, 0x3f4178ce, v5
	v_mul_f32_e32 v85, 0xbf75a155, v37
	v_add_f32_e32 v26, v75, v26
	v_mul_f32_e32 v75, 0xbe11bafb, v33
	v_add_f32_e32 v18, v19, v18
	v_mov_b32_e32 v19, v85
	v_mul_f32_e32 v86, 0xbe11bafb, v40
	v_mov_b32_e32 v30, v75
	v_mul_f32_e32 v31, 0xbf75a155, v36
	v_fmac_f32_e32 v19, 0xbe903f40, v8
	v_add_f32_e32 v6, v6, v10
	v_mov_b32_e32 v10, v86
	v_mul_f32_e32 v87, 0xbf68dda4, v54
	v_fmac_f32_e32 v30, 0x3f7d64f0, v4
	v_mov_b32_e32 v76, v31
	v_add_f32_e32 v18, v19, v18
	v_add_f32_e32 v7, v7, v11
	v_fmac_f32_e32 v10, 0xbf7d64f0, v9
	v_mov_b32_e32 v11, v87
	v_mul_f32_e32 v88, 0xbf4178ce, v55
	v_add_f32_e32 v30, v3, v30
	v_fmac_f32_e32 v76, 0xbe903f40, v5
	v_add_f32_e32 v10, v10, v18
	v_fmac_f32_e32 v11, 0x3ed4b147, v13
	v_mov_b32_e32 v18, v88
	v_add_f32_e32 v30, v76, v30
	v_mul_f32_e32 v76, 0x3ed4b147, v37
	v_add_f32_e32 v11, v2, v11
	v_fmac_f32_e32 v18, 0xbf27a4f4, v16
	v_mul_f32_e32 v89, 0x3e903f40, v63
	v_mov_b32_e32 v77, v76
	v_add_f32_e32 v11, v18, v11
	v_mov_b32_e32 v18, v89
	v_fmac_f32_e32 v77, 0xbf68dda4, v8
	v_fmac_f32_e32 v18, 0xbf75a155, v17
	v_mul_f32_e32 v90, 0x3f7d64f0, v66
	v_add_f32_e32 v30, v77, v30
	v_mul_f32_e32 v77, 0x3f575c64, v40
	v_add_f32_e32 v11, v18, v11
	v_mov_b32_e32 v18, v90
	v_mov_b32_e32 v78, v77
	v_fmac_f32_e32 v18, 0xbe11bafb, v65
	v_mul_f32_e32 v91, 0x3f575c64, v41
	v_fmac_f32_e32 v78, 0x3f0a6770, v9
	v_add_f32_e32 v18, v18, v11
	v_mov_b32_e32 v11, v91
	v_add_f32_e32 v30, v78, v30
	v_mul_f32_e32 v78, 0xbf7d64f0, v54
	v_fmac_f32_e32 v11, 0xbf0a6770, v12
	v_mul_f32_e32 v92, 0x3f0a6770, v67
	v_mov_b32_e32 v22, v78
	v_mul_f32_e32 v79, 0x3e903f40, v55
	v_add_f32_e32 v11, v11, v10
	v_mov_b32_e32 v10, v92
	v_fmac_f32_e32 v22, 0xbe11bafb, v13
	v_mov_b32_e32 v23, v79
	v_mul_f32_e32 v81, 0x3f68dda4, v63
	v_fmac_f32_e32 v10, 0x3f575c64, v43
	v_mul_f32_e32 v33, 0x3f575c64, v33
	v_add_f32_e32 v22, v2, v22
	v_fmac_f32_e32 v23, 0xbf75a155, v16
	v_mov_b32_e32 v14, v81
	v_mul_f32_e32 v82, 0xbf0a6770, v66
	v_add_f32_e32 v10, v10, v18
	v_mov_b32_e32 v18, v33
	v_mul_f32_e32 v36, 0x3ed4b147, v36
	v_add_f32_e32 v22, v23, v22
	v_fmac_f32_e32 v14, 0x3ed4b147, v17
	v_mov_b32_e32 v15, v82
	v_fmac_f32_e32 v18, 0x3f0a6770, v4
	v_mov_b32_e32 v19, v36
	v_mul_f32_e32 v80, 0xbf27a4f4, v41
	v_add_f32_e32 v14, v14, v22
	v_fmac_f32_e32 v15, 0x3f575c64, v65
	v_add_f32_e32 v18, v3, v18
	v_fmac_f32_e32 v19, 0x3f68dda4, v5
	v_mul_f32_e32 v37, 0xbe11bafb, v37
	v_add_f32_e32 v14, v15, v14
	v_mov_b32_e32 v15, v80
	v_add_f32_e32 v18, v19, v18
	v_mov_b32_e32 v19, v37
	v_fmac_f32_e32 v15, 0x3f4178ce, v12
	v_fmac_f32_e32 v19, 0x3f7d64f0, v8
	v_mul_f32_e32 v40, 0xbf27a4f4, v40
	v_add_f32_e32 v15, v15, v30
	v_mul_f32_e32 v30, 0xbf4178ce, v67
	v_add_f32_e32 v18, v19, v18
	v_mov_b32_e32 v19, v40
	v_mov_b32_e32 v22, v30
	v_fmac_f32_e32 v19, 0x3f4178ce, v9
	v_mul_f32_e32 v54, 0xbf0a6770, v54
	v_fmac_f32_e32 v22, 0xbf27a4f4, v43
	v_add_f32_e32 v18, v19, v18
	v_mov_b32_e32 v19, v54
	v_mul_f32_e32 v55, 0xbf68dda4, v55
	v_add_f32_e32 v14, v22, v14
	v_fmac_f32_e32 v19, 0x3f575c64, v13
	v_mov_b32_e32 v22, v55
	v_add_f32_e32 v19, v2, v19
	v_fmac_f32_e32 v22, 0x3ed4b147, v16
	v_mul_f32_e32 v63, 0xbf7d64f0, v63
	v_add_f32_e32 v19, v22, v19
	v_mov_b32_e32 v22, v63
	v_fmac_f32_e32 v22, 0xbe11bafb, v17
	v_mul_f32_e32 v66, 0xbf4178ce, v66
	v_add_f32_e32 v19, v22, v19
	v_mov_b32_e32 v22, v66
	;; [unrolled: 4-line block ×4, first 2 shown]
	v_fmac_f32_e32 v18, 0xbf75a155, v43
	v_fmac_f32_e32 v20, 0xbe903f40, v4
	v_add_f32_e32 v18, v18, v22
	v_add_f32_e32 v20, v3, v20
	v_fmac_f32_e32 v24, 0x3f0a6770, v5
	v_fma_f32 v22, v13, s15, -v29
	v_add_f32_e32 v20, v24, v20
	v_fmac_f32_e32 v25, 0xbf4178ce, v8
	v_add_f32_e32 v22, v2, v22
	v_fma_f32 v23, v16, s11, -v32
	v_add_f32_e32 v20, v25, v20
	v_fmac_f32_e32 v28, 0x3f68dda4, v9
	v_add_f32_e32 v22, v23, v22
	v_fma_f32 v23, v17, s14, -v64
	v_add_f32_e32 v20, v28, v20
	v_add_f32_e32 v22, v23, v22
	v_fma_f32 v23, v65, s12, -v42
	v_fmac_f32_e32 v21, 0xbf7d64f0, v12
	v_add_f32_e32 v22, v23, v22
	v_add_f32_e32 v21, v21, v20
	v_fma_f32 v20, v43, s13, -v68
	v_fmac_f32_e32 v69, 0xbf4178ce, v4
	v_add_f32_e32 v20, v20, v22
	v_add_f32_e32 v22, v3, v69
	v_fmac_f32_e32 v39, 0x3f7d64f0, v5
	v_add_f32_e32 v22, v39, v22
	v_fmac_f32_e32 v70, 0xbf0a6770, v8
	;; [unrolled: 2-line block ×4, first 2 shown]
	v_add_f32_e32 v23, v73, v22
	v_fma_f32 v22, v13, s14, -v34
	v_add_f32_e32 v22, v2, v22
	v_fma_f32 v24, v16, s13, -v72
	;; [unrolled: 2-line block ×5, first 2 shown]
	v_fmac_f32_e32 v75, 0xbf7d64f0, v4
	v_add_f32_e32 v22, v24, v22
	v_add_f32_e32 v24, v3, v75
	v_fmac_f32_e32 v31, 0x3e903f40, v5
	v_add_f32_e32 v24, v31, v24
	v_fmac_f32_e32 v76, 0x3f68dda4, v8
	;; [unrolled: 2-line block ×4, first 2 shown]
	v_add_f32_e32 v25, v80, v24
	v_fma_f32 v24, v13, s13, -v78
	v_add_f32_e32 v24, v2, v24
	v_fma_f32 v28, v16, s15, -v79
	;; [unrolled: 2-line block ×5, first 2 shown]
	v_fmac_f32_e32 v83, 0xbf68dda4, v4
	v_add_f32_e32 v24, v28, v24
	v_add_f32_e32 v28, v3, v83
	v_fmac_f32_e32 v84, 0xbf4178ce, v5
	v_add_f32_e32 v28, v84, v28
	v_fmac_f32_e32 v85, 0x3e903f40, v8
	;; [unrolled: 2-line block ×4, first 2 shown]
	v_add_f32_e32 v29, v91, v28
	v_fma_f32 v28, v13, s12, -v87
	v_fmac_f32_e32 v33, 0xbf0a6770, v4
	v_fma_f32 v4, v13, s11, -v54
	v_add_f32_e32 v28, v2, v28
	v_add_f32_e32 v2, v2, v4
	v_fma_f32 v4, v16, s12, -v55
	v_add_f32_e32 v2, v4, v2
	v_fma_f32 v4, v17, s13, -v63
	;; [unrolled: 2-line block ×3, first 2 shown]
	v_mul_u32_u24_e32 v32, 0x58, v52
	v_add_f32_e32 v2, v4, v2
	v_fma_f32 v4, v43, s15, -v67
	v_add_f32_e32 v2, v4, v2
	v_add_u32_e32 v4, 0, v32
	v_fma_f32 v30, v16, s14, -v88
	v_fmac_f32_e32 v36, 0xbf68dda4, v5
	v_add_u32_e32 v5, 0x2208, v4
	v_add_f32_e32 v28, v30, v28
	v_fma_f32 v30, v17, s15, -v89
	v_add_f32_e32 v3, v3, v33
	ds_write2_b64 v5, v[6:7], v[18:19] offset1:1
	v_add_u32_e32 v5, 0x2218, v4
	v_add_f32_e32 v28, v30, v28
	v_fma_f32 v30, v65, s13, -v90
	v_add_f32_e32 v3, v36, v3
	v_fmac_f32_e32 v37, 0xbf7d64f0, v8
	ds_write2_b64 v5, v[10:11], v[14:15] offset1:1
	v_add_u32_e32 v5, 0x2228, v4
	v_add_f32_e32 v28, v30, v28
	v_fma_f32 v30, v43, s11, -v92
	v_add_f32_e32 v3, v37, v3
	v_fmac_f32_e32 v40, 0xbf4178ce, v9
	ds_write2_b64 v5, v[26:27], v[0:1] offset1:1
	v_add_u32_e32 v0, 0x2238, v4
	v_add_f32_e32 v28, v30, v28
	v_add_f32_e32 v3, v40, v3
	v_fmac_f32_e32 v41, 0xbe903f40, v12
	ds_write2_b64 v0, v[20:21], v[22:23] offset1:1
	v_add_u32_e32 v0, 0x2248, v4
	v_add_f32_e32 v3, v41, v3
	ds_write2_b64 v0, v[24:25], v[28:29] offset1:1
	ds_write_b64 v4, v[2:3] offset:8792
.LBB0_19:
	s_or_b64 exec, exec, s[4:5]
	s_movk_i32 s4, 0x75
	v_mul_lo_u16_sdwa v0, v52, s4 dst_sel:DWORD dst_unused:UNUSED_PAD src0_sel:BYTE_0 src1_sel:DWORD
	v_sub_u16_sdwa v4, v52, v0 dst_sel:DWORD dst_unused:UNUSED_PAD src0_sel:DWORD src1_sel:BYTE_1
	v_lshrrev_b16_e32 v4, 1, v4
	v_add_u32_e32 v1, 0xc6, v52
	v_and_b32_e32 v4, 0x7f, v4
	s_mov_b32 s5, 0xba2f
	v_add_u16_sdwa v0, v4, v0 dst_sel:DWORD dst_unused:UNUSED_PAD src0_sel:DWORD src1_sel:BYTE_1
	v_mul_u32_u24_sdwa v4, v1, s5 dst_sel:DWORD dst_unused:UNUSED_PAD src0_sel:WORD_0 src1_sel:DWORD
	v_lshrrev_b16_e32 v42, 3, v0
	v_lshrrev_b32_e32 v55, 19, v4
	v_add_u32_e32 v3, 0x129, v52
	v_mul_lo_u16_e32 v0, 11, v42
	v_mul_lo_u16_e32 v4, 11, v55
	v_sub_u16_e32 v43, v52, v0
	v_mov_b32_e32 v54, 4
	v_sub_u16_e32 v87, v1, v4
	v_mul_u32_u24_sdwa v5, v3, s5 dst_sel:DWORD dst_unused:UNUSED_PAD src0_sel:WORD_0 src1_sel:DWORD
	v_lshlrev_b32_sdwa v0, v54, v43 dst_sel:DWORD dst_unused:UNUSED_PAD src0_sel:DWORD src1_sel:BYTE_0
	v_lshlrev_b32_e32 v4, 4, v87
	v_lshrrev_b32_e32 v88, 19, v5
	s_waitcnt lgkmcnt(0)
	s_barrier
	global_load_dwordx4 v[6:9], v4, s[8:9]
	global_load_dwordx4 v[14:17], v0, s[8:9]
	v_mul_lo_u16_e32 v4, 11, v88
	v_sub_u16_e32 v89, v3, v4
	v_add_u32_e32 v2, 0x63, v52
	v_lshlrev_b32_e32 v4, 4, v89
	global_load_dwordx4 v[10:13], v4, s[8:9]
	v_mul_lo_u16_sdwa v4, v2, s4 dst_sel:DWORD dst_unused:UNUSED_PAD src0_sel:BYTE_0 src1_sel:DWORD
	v_sub_u16_sdwa v5, v2, v4 dst_sel:DWORD dst_unused:UNUSED_PAD src0_sel:DWORD src1_sel:BYTE_1
	v_lshrrev_b16_e32 v5, 1, v5
	v_and_b32_e32 v5, 0x7f, v5
	v_add_u16_sdwa v4, v5, v4 dst_sel:DWORD dst_unused:UNUSED_PAD src0_sel:DWORD src1_sel:BYTE_1
	v_lshrrev_b16_e32 v90, 3, v4
	v_mul_lo_u16_e32 v0, 11, v90
	v_sub_u16_e32 v91, v2, v0
	v_lshlrev_b32_sdwa v0, v54, v91 dst_sel:DWORD dst_unused:UNUSED_PAD src0_sel:DWORD src1_sel:BYTE_0
	v_add_u32_e32 v4, 0x18c, v52
	global_load_dwordx4 v[18:21], v0, s[8:9]
	v_mul_u32_u24_sdwa v0, v4, s5 dst_sel:DWORD dst_unused:UNUSED_PAD src0_sel:WORD_0 src1_sel:DWORD
	v_lshrrev_b32_e32 v92, 19, v0
	v_mul_lo_u16_e32 v0, 11, v92
	v_sub_u16_e32 v93, v4, v0
	v_lshlrev_b32_e32 v0, 4, v93
	v_add_u32_e32 v5, 0x1ef, v52
	global_load_dwordx4 v[22:25], v0, s[8:9]
	v_mul_u32_u24_sdwa v0, v5, s5 dst_sel:DWORD dst_unused:UNUSED_PAD src0_sel:WORD_0 src1_sel:DWORD
	v_lshrrev_b32_e32 v94, 19, v0
	v_mul_lo_u16_e32 v0, 11, v94
	v_sub_u16_e32 v95, v5, v0
	v_lshlrev_b32_e32 v0, 4, v95
	global_load_dwordx4 v[26:29], v0, s[8:9]
	ds_read2_b64 v[30:33], v45 offset1:99
	ds_read2_b64 v[34:37], v57 offset0:82 offset1:181
	v_add_u32_e32 v0, 0x2400, v45
	ds_read2_b64 v[38:41], v60 offset0:70 offset1:169
	ds_read2_b64 v[63:66], v56 offset0:24 offset1:123
	;; [unrolled: 1-line block ×7, first 2 shown]
	s_waitcnt vmcnt(0) lgkmcnt(0)
	s_barrier
	s_movk_i32 s4, 0xf9
	v_mul_f32_e32 v96, v64, v7
	v_mul_f32_e32 v7, v63, v7
	;; [unrolled: 1-line block ×4, first 2 shown]
	v_fmac_f32_e32 v96, v63, v6
	v_fma_f32 v63, v64, v6, -v7
	v_mul_f32_e32 v98, v66, v11
	v_mul_f32_e32 v11, v65, v11
	v_fmac_f32_e32 v98, v65, v10
	v_mul_f32_e32 v65, v15, v35
	v_mul_f32_e32 v6, v15, v34
	;; [unrolled: 1-line block ×4, first 2 shown]
	v_fmac_f32_e32 v97, v67, v8
	v_fma_f32 v64, v68, v8, -v9
	v_fmac_f32_e32 v65, v14, v34
	v_fma_f32 v14, v14, v35, -v6
	v_mul_f32_e32 v17, v19, v37
	v_mul_f32_e32 v8, v19, v36
	;; [unrolled: 1-line block ×4, first 2 shown]
	v_fmac_f32_e32 v15, v16, v83
	v_fma_f32 v16, v16, v84, -v7
	v_fmac_f32_e32 v19, v85, v20
	v_fma_f32 v20, v86, v20, -v9
	v_add_f32_e32 v7, v65, v15
	v_add_f32_e32 v9, v14, v16
	v_fmac_f32_e32 v17, v18, v36
	v_fma_f32 v18, v18, v37, -v8
	v_mul_f32_e32 v35, v70, v13
	v_mul_f32_e32 v6, v69, v13
	v_fma_f32 v8, -0.5, v7, v30
	v_fma_f32 v9, -0.5, v9, v31
	v_fma_f32 v34, v66, v10, -v11
	v_fmac_f32_e32 v35, v69, v12
	v_fma_f32 v36, v70, v12, -v6
	v_sub_f32_e32 v7, v14, v16
	v_mov_b32_e32 v10, v8
	v_sub_f32_e32 v12, v65, v15
	v_mov_b32_e32 v11, v9
	v_fmac_f32_e32 v10, 0xbf5db3d7, v7
	v_fmac_f32_e32 v8, 0x3f5db3d7, v7
	v_add_f32_e32 v7, v31, v14
	v_fmac_f32_e32 v11, 0x3f5db3d7, v12
	v_fmac_f32_e32 v9, 0xbf5db3d7, v12
	v_add_f32_e32 v12, v32, v17
	v_mul_f32_e32 v6, v75, v23
	v_add_f32_e32 v7, v7, v16
	v_add_f32_e32 v12, v12, v19
	;; [unrolled: 1-line block ×3, first 2 shown]
	v_sub_f32_e32 v16, v17, v19
	v_add_f32_e32 v19, v63, v64
	v_mul_f32_e32 v37, v76, v23
	v_fma_f32 v66, v76, v22, -v6
	v_mul_f32_e32 v6, v79, v25
	v_fma_f32 v19, -0.5, v19, v39
	v_fmac_f32_e32 v37, v75, v22
	v_fma_f32 v68, v80, v24, -v6
	v_mul_f32_e32 v6, v77, v27
	v_sub_f32_e32 v22, v96, v97
	v_mov_b32_e32 v21, v19
	v_add_f32_e32 v23, v98, v35
	v_mul_f32_e32 v67, v80, v25
	v_mul_f32_e32 v69, v78, v27
	v_fma_f32 v70, v78, v26, -v6
	v_mul_f32_e32 v75, v82, v29
	v_mul_f32_e32 v6, v81, v29
	v_fmac_f32_e32 v21, 0x3f5db3d7, v22
	v_fmac_f32_e32 v19, 0xbf5db3d7, v22
	v_add_f32_e32 v22, v40, v98
	v_fma_f32 v40, -0.5, v23, v40
	v_add_f32_e32 v29, v66, v68
	v_fmac_f32_e32 v67, v79, v24
	v_fmac_f32_e32 v69, v77, v26
	;; [unrolled: 1-line block ×3, first 2 shown]
	v_sub_f32_e32 v23, v34, v36
	v_mov_b32_e32 v24, v40
	v_add_f32_e32 v25, v34, v36
	v_fma_f32 v29, -0.5, v29, v72
	v_fma_f32 v76, v82, v28, -v6
	v_add_f32_e32 v6, v30, v65
	v_fma_f32 v32, -0.5, v13, v32
	v_add_f32_e32 v22, v22, v35
	v_fmac_f32_e32 v24, 0xbf5db3d7, v23
	v_fmac_f32_e32 v40, 0x3f5db3d7, v23
	v_add_f32_e32 v23, v41, v34
	v_fmac_f32_e32 v41, -0.5, v25
	v_sub_f32_e32 v26, v98, v35
	v_sub_f32_e32 v34, v37, v67
	v_mov_b32_e32 v31, v29
	v_add_f32_e32 v35, v69, v75
	v_add_f32_e32 v6, v6, v15
	v_sub_f32_e32 v13, v18, v20
	v_mov_b32_e32 v14, v32
	v_add_f32_e32 v15, v18, v20
	v_mov_b32_e32 v25, v41
	v_fmac_f32_e32 v31, 0x3f5db3d7, v34
	v_fmac_f32_e32 v29, 0xbf5db3d7, v34
	v_add_f32_e32 v34, v73, v69
	v_fma_f32 v73, -0.5, v35, v73
	v_fmac_f32_e32 v14, 0xbf5db3d7, v13
	v_fmac_f32_e32 v32, 0x3f5db3d7, v13
	v_add_f32_e32 v13, v33, v18
	v_fmac_f32_e32 v33, -0.5, v15
	v_add_f32_e32 v23, v23, v36
	v_fmac_f32_e32 v25, 0x3f5db3d7, v26
	v_fmac_f32_e32 v41, 0xbf5db3d7, v26
	v_add_f32_e32 v26, v71, v37
	v_add_f32_e32 v27, v37, v67
	v_sub_f32_e32 v35, v70, v76
	v_mov_b32_e32 v36, v73
	v_add_f32_e32 v37, v70, v76
	v_mov_b32_e32 v15, v33
	v_add_f32_e32 v17, v96, v97
	v_fmac_f32_e32 v36, 0xbf5db3d7, v35
	v_fmac_f32_e32 v73, 0x3f5db3d7, v35
	v_add_f32_e32 v35, v74, v70
	v_fmac_f32_e32 v74, -0.5, v37
	v_fmac_f32_e32 v15, 0x3f5db3d7, v16
	v_fmac_f32_e32 v33, 0xbf5db3d7, v16
	v_add_f32_e32 v16, v38, v96
	v_fma_f32 v18, -0.5, v17, v38
	v_sub_f32_e32 v38, v69, v75
	v_mov_b32_e32 v37, v74
	v_add_f32_e32 v13, v13, v20
	v_sub_f32_e32 v17, v63, v64
	v_mov_b32_e32 v20, v18
	v_fmac_f32_e32 v37, 0x3f5db3d7, v38
	v_fmac_f32_e32 v74, 0xbf5db3d7, v38
	v_mul_u32_u24_e32 v38, 0x108, v42
	v_mov_b32_e32 v42, 3
	v_fmac_f32_e32 v20, 0xbf5db3d7, v17
	v_fmac_f32_e32 v18, 0x3f5db3d7, v17
	v_add_f32_e32 v17, v39, v63
	v_lshlrev_b32_sdwa v39, v42, v43 dst_sel:DWORD dst_unused:UNUSED_PAD src0_sel:DWORD src1_sel:BYTE_0
	v_add3_u32 v38, 0, v38, v39
	ds_write2_b64 v38, v[6:7], v[10:11] offset1:11
	ds_write_b64 v38, v[8:9] offset:176
	v_mul_u32_u24_e32 v6, 0x108, v90
	v_lshlrev_b32_sdwa v7, v42, v91 dst_sel:DWORD dst_unused:UNUSED_PAD src0_sel:DWORD src1_sel:BYTE_0
	v_add3_u32 v6, 0, v6, v7
	ds_write2_b64 v6, v[12:13], v[14:15] offset1:11
	ds_write_b64 v6, v[32:33] offset:176
	v_mul_u32_u24_e32 v6, 0x108, v55
	v_lshlrev_b32_e32 v7, 3, v87
	v_add_f32_e32 v16, v16, v97
	v_add_f32_e32 v17, v17, v64
	v_add3_u32 v6, 0, v6, v7
	v_fma_f32 v28, -0.5, v27, v71
	ds_write2_b64 v6, v[16:17], v[20:21] offset1:11
	ds_write_b64 v6, v[18:19] offset:176
	v_mul_u32_u24_e32 v6, 0x108, v88
	v_lshlrev_b32_e32 v7, 3, v89
	v_sub_f32_e32 v27, v66, v68
	v_mov_b32_e32 v30, v28
	v_add3_u32 v6, 0, v6, v7
	v_fmac_f32_e32 v30, 0xbf5db3d7, v27
	v_fmac_f32_e32 v28, 0x3f5db3d7, v27
	v_add_f32_e32 v27, v72, v66
	ds_write2_b64 v6, v[22:23], v[24:25] offset1:11
	ds_write_b64 v6, v[40:41] offset:176
	v_mul_u32_u24_e32 v6, 0x108, v92
	v_lshlrev_b32_e32 v7, 3, v93
	v_add_f32_e32 v26, v26, v67
	v_add_f32_e32 v27, v27, v68
	v_add3_u32 v6, 0, v6, v7
	ds_write2_b64 v6, v[26:27], v[30:31] offset1:11
	ds_write_b64 v6, v[28:29] offset:176
	v_mul_u32_u24_e32 v6, 0x108, v94
	v_lshlrev_b32_e32 v7, 3, v95
	v_add_f32_e32 v34, v34, v75
	v_add_f32_e32 v35, v35, v76
	v_add3_u32 v6, 0, v6, v7
	ds_write2_b64 v6, v[34:35], v[36:37] offset1:11
	ds_write_b64 v6, v[73:74] offset:176
	v_mul_lo_u16_sdwa v6, v52, s4 dst_sel:DWORD dst_unused:UNUSED_PAD src0_sel:BYTE_0 src1_sel:DWORD
	v_lshrrev_b16_e32 v43, 13, v6
	v_mul_lo_u16_sdwa v10, v2, s4 dst_sel:DWORD dst_unused:UNUSED_PAD src0_sel:BYTE_0 src1_sel:DWORD
	v_mul_lo_u16_e32 v6, 33, v43
	v_lshrrev_b16_e32 v87, 13, v10
	v_sub_u16_e32 v55, v52, v6
	v_mul_lo_u16_e32 v10, 33, v87
	s_mov_b32 s4, 0xf83f
	v_lshlrev_b32_sdwa v6, v54, v55 dst_sel:DWORD dst_unused:UNUSED_PAD src0_sel:DWORD src1_sel:BYTE_0
	v_sub_u16_e32 v88, v2, v10
	v_mul_u32_u24_sdwa v14, v1, s4 dst_sel:DWORD dst_unused:UNUSED_PAD src0_sel:WORD_0 src1_sel:DWORD
	s_waitcnt lgkmcnt(0)
	s_barrier
	global_load_dwordx4 v[6:9], v6, s[8:9] offset:176
	v_lshlrev_b32_sdwa v10, v54, v88 dst_sel:DWORD dst_unused:UNUSED_PAD src0_sel:DWORD src1_sel:BYTE_0
	global_load_dwordx4 v[10:13], v10, s[8:9] offset:176
	v_lshrrev_b32_e32 v54, 21, v14
	v_mul_lo_u16_e32 v14, 33, v54
	v_mul_u32_u24_sdwa v18, v3, s4 dst_sel:DWORD dst_unused:UNUSED_PAD src0_sel:WORD_0 src1_sel:DWORD
	v_sub_u16_e32 v89, v1, v14
	v_lshrrev_b32_e32 v90, 21, v18
	v_lshlrev_b32_e32 v14, 4, v89
	v_mul_lo_u16_e32 v18, 33, v90
	v_mul_u32_u24_sdwa v22, v4, s4 dst_sel:DWORD dst_unused:UNUSED_PAD src0_sel:WORD_0 src1_sel:DWORD
	global_load_dwordx4 v[14:17], v14, s[8:9] offset:176
	v_sub_u16_e32 v91, v3, v18
	v_lshrrev_b32_e32 v92, 21, v22
	v_lshlrev_b32_e32 v18, 4, v91
	global_load_dwordx4 v[18:21], v18, s[8:9] offset:176
	v_mul_lo_u16_e32 v22, 33, v92
	v_mul_u32_u24_sdwa v26, v5, s4 dst_sel:DWORD dst_unused:UNUSED_PAD src0_sel:WORD_0 src1_sel:DWORD
	v_sub_u16_e32 v93, v4, v22
	v_lshrrev_b32_e32 v94, 21, v26
	v_lshlrev_b32_e32 v22, 4, v93
	v_mul_lo_u16_e32 v26, 33, v94
	global_load_dwordx4 v[22:25], v22, s[8:9] offset:176
	v_sub_u16_e32 v95, v5, v26
	v_lshlrev_b32_e32 v26, 4, v95
	global_load_dwordx4 v[26:29], v26, s[8:9] offset:176
	ds_read2_b64 v[30:33], v45 offset1:99
	ds_read2_b64 v[34:37], v57 offset0:82 offset1:181
	ds_read2_b64 v[38:41], v0 offset0:36 offset1:135
	;; [unrolled: 1-line block ×8, first 2 shown]
	s_waitcnt vmcnt(0) lgkmcnt(0)
	s_barrier
	s_mov_b32 s4, 0xa57f
	v_lshlrev_b32_e32 v52, 1, v52
	v_mul_f32_e32 v96, v7, v35
	v_mul_f32_e32 v7, v7, v34
	v_fmac_f32_e32 v96, v6, v34
	v_fma_f32 v34, v6, v35, -v7
	v_mul_f32_e32 v35, v9, v39
	v_mul_f32_e32 v6, v9, v38
	v_fmac_f32_e32 v35, v8, v38
	v_fma_f32 v9, v8, v39, -v6
	;; [unrolled: 4-line block ×6, first 2 shown]
	v_mul_f32_e32 v71, v70, v19
	v_mul_f32_e32 v6, v69, v19
	v_add_f32_e32 v7, v96, v35
	v_fmac_f32_e32 v71, v69, v18
	v_fma_f32 v69, v70, v18, -v6
	v_mul_f32_e32 v70, v74, v21
	v_mul_f32_e32 v6, v73, v21
	v_fma_f32 v8, -0.5, v7, v30
	v_fmac_f32_e32 v70, v73, v20
	v_fma_f32 v72, v74, v20, -v6
	v_mul_f32_e32 v73, v80, v23
	v_mul_f32_e32 v6, v79, v23
	v_sub_f32_e32 v7, v34, v9
	v_mov_b32_e32 v10, v8
	v_fmac_f32_e32 v73, v79, v22
	v_fma_f32 v74, v80, v22, -v6
	v_mul_f32_e32 v79, v84, v25
	v_mul_f32_e32 v6, v83, v25
	v_fmac_f32_e32 v10, 0xbf5db3d7, v7
	v_fmac_f32_e32 v8, 0x3f5db3d7, v7
	v_add_f32_e32 v7, v31, v34
	v_fmac_f32_e32 v79, v83, v24
	v_fma_f32 v80, v84, v24, -v6
	v_mul_f32_e32 v83, v82, v27
	v_mul_f32_e32 v6, v81, v27
	v_add_f32_e32 v7, v7, v9
	v_add_f32_e32 v9, v34, v9
	v_fmac_f32_e32 v83, v81, v26
	v_fma_f32 v81, v82, v26, -v6
	v_mul_f32_e32 v82, v86, v29
	v_mul_f32_e32 v6, v85, v29
	v_fma_f32 v9, -0.5, v9, v31
	v_add_f32_e32 v29, v74, v80
	v_fmac_f32_e32 v82, v85, v28
	v_fma_f32 v84, v86, v28, -v6
	v_add_f32_e32 v6, v30, v96
	v_sub_f32_e32 v12, v96, v35
	v_mov_b32_e32 v11, v9
	v_add_f32_e32 v13, v38, v37
	v_fma_f32 v29, -0.5, v29, v76
	v_add_f32_e32 v6, v6, v35
	v_fmac_f32_e32 v11, 0x3f5db3d7, v12
	v_fmac_f32_e32 v9, 0xbf5db3d7, v12
	v_add_f32_e32 v12, v32, v38
	v_fma_f32 v32, -0.5, v13, v32
	v_sub_f32_e32 v34, v73, v79
	v_mov_b32_e32 v31, v29
	v_add_f32_e32 v35, v83, v82
	v_sub_f32_e32 v13, v36, v39
	v_mov_b32_e32 v14, v32
	v_fmac_f32_e32 v31, 0x3f5db3d7, v34
	v_fmac_f32_e32 v29, 0xbf5db3d7, v34
	v_add_f32_e32 v34, v77, v83
	v_fma_f32 v77, -0.5, v35, v77
	v_add_f32_e32 v12, v12, v37
	v_fmac_f32_e32 v14, 0xbf5db3d7, v13
	v_fmac_f32_e32 v32, 0x3f5db3d7, v13
	v_add_f32_e32 v13, v33, v36
	v_add_f32_e32 v15, v36, v39
	v_sub_f32_e32 v16, v38, v37
	v_sub_f32_e32 v35, v81, v84
	v_mov_b32_e32 v36, v77
	v_add_f32_e32 v37, v81, v84
	v_fmac_f32_e32 v36, 0xbf5db3d7, v35
	v_fmac_f32_e32 v77, 0x3f5db3d7, v35
	v_add_f32_e32 v35, v78, v81
	v_fmac_f32_e32 v78, -0.5, v37
	v_sub_f32_e32 v38, v83, v82
	v_mov_b32_e32 v37, v78
	v_add_f32_e32 v13, v13, v39
	v_add_f32_e32 v19, v41, v68
	v_fmac_f32_e32 v37, 0x3f5db3d7, v38
	v_fmac_f32_e32 v78, 0xbf5db3d7, v38
	v_mul_u32_u24_e32 v38, 0x318, v43
	v_lshlrev_b32_sdwa v39, v42, v55 dst_sel:DWORD dst_unused:UNUSED_PAD src0_sel:DWORD src1_sel:BYTE_0
	v_fmac_f32_e32 v33, -0.5, v15
	v_add_f32_e32 v17, v40, v67
	v_fma_f32 v19, -0.5, v19, v64
	v_add3_u32 v38, 0, v38, v39
	v_mov_b32_e32 v15, v33
	v_fma_f32 v18, -0.5, v17, v63
	v_sub_f32_e32 v22, v40, v67
	v_mov_b32_e32 v21, v19
	v_add_f32_e32 v23, v71, v70
	ds_write2_b64 v38, v[6:7], v[10:11] offset1:33
	ds_write_b64 v38, v[8:9] offset:528
	v_mul_u32_u24_e32 v6, 0x318, v87
	v_lshlrev_b32_sdwa v7, v42, v88 dst_sel:DWORD dst_unused:UNUSED_PAD src0_sel:DWORD src1_sel:BYTE_0
	v_fmac_f32_e32 v15, 0x3f5db3d7, v16
	v_sub_f32_e32 v17, v41, v68
	v_mov_b32_e32 v20, v18
	v_fmac_f32_e32 v21, 0x3f5db3d7, v22
	v_fmac_f32_e32 v19, 0xbf5db3d7, v22
	v_add_f32_e32 v22, v65, v71
	v_fma_f32 v65, -0.5, v23, v65
	v_add3_u32 v6, 0, v6, v7
	v_fmac_f32_e32 v33, 0xbf5db3d7, v16
	v_add_f32_e32 v16, v63, v40
	v_fmac_f32_e32 v20, 0xbf5db3d7, v17
	v_fmac_f32_e32 v18, 0x3f5db3d7, v17
	v_add_f32_e32 v17, v64, v41
	v_sub_f32_e32 v23, v69, v72
	v_mov_b32_e32 v24, v65
	v_add_f32_e32 v25, v69, v72
	ds_write2_b64 v6, v[12:13], v[14:15] offset1:33
	ds_write_b64 v6, v[32:33] offset:528
	v_mul_u32_u24_e32 v6, 0x318, v54
	v_lshlrev_b32_e32 v7, 3, v89
	v_add_f32_e32 v16, v16, v67
	v_add_f32_e32 v17, v17, v68
	v_fmac_f32_e32 v24, 0xbf5db3d7, v23
	v_fmac_f32_e32 v65, 0x3f5db3d7, v23
	v_add_f32_e32 v23, v66, v69
	v_fmac_f32_e32 v66, -0.5, v25
	v_add_f32_e32 v27, v73, v79
	v_add3_u32 v6, 0, v6, v7
	v_sub_f32_e32 v26, v71, v70
	v_mov_b32_e32 v25, v66
	v_fma_f32 v28, -0.5, v27, v75
	ds_write2_b64 v6, v[16:17], v[20:21] offset1:33
	ds_write_b64 v6, v[18:19] offset:528
	v_mul_u32_u24_e32 v6, 0x318, v90
	v_lshlrev_b32_e32 v7, 3, v91
	v_add_f32_e32 v22, v22, v70
	v_add_f32_e32 v23, v23, v72
	v_fmac_f32_e32 v25, 0x3f5db3d7, v26
	v_sub_f32_e32 v27, v74, v80
	v_mov_b32_e32 v30, v28
	v_add3_u32 v6, 0, v6, v7
	v_fmac_f32_e32 v66, 0xbf5db3d7, v26
	v_add_f32_e32 v26, v75, v73
	v_fmac_f32_e32 v30, 0xbf5db3d7, v27
	v_fmac_f32_e32 v28, 0x3f5db3d7, v27
	v_add_f32_e32 v27, v76, v74
	ds_write2_b64 v6, v[22:23], v[24:25] offset1:33
	ds_write_b64 v6, v[65:66] offset:528
	v_mul_u32_u24_e32 v6, 0x318, v92
	v_lshlrev_b32_e32 v7, 3, v93
	v_add_f32_e32 v26, v26, v79
	v_add_f32_e32 v27, v27, v80
	v_add3_u32 v6, 0, v6, v7
	ds_write2_b64 v6, v[26:27], v[30:31] offset1:33
	ds_write_b64 v6, v[28:29] offset:528
	v_mul_u32_u24_e32 v6, 0x318, v94
	v_lshlrev_b32_e32 v7, 3, v95
	v_mul_u32_u24_sdwa v11, v1, s4 dst_sel:DWORD dst_unused:UNUSED_PAD src0_sel:WORD_0 src1_sel:DWORD
	v_mul_u32_u24_sdwa v15, v3, s4 dst_sel:DWORD dst_unused:UNUSED_PAD src0_sel:WORD_0 src1_sel:DWORD
	v_add3_u32 v6, 0, v6, v7
	v_lshlrev_b64 v[7:8], 3, v[52:53]
	v_lshrrev_b32_e32 v11, 22, v11
	v_lshrrev_b32_e32 v15, 22, v15
	v_add_f32_e32 v34, v34, v82
	v_add_f32_e32 v35, v35, v84
	v_mul_lo_u16_e32 v11, 0x63, v11
	v_mul_lo_u16_e32 v15, 0x63, v15
	ds_write2_b64 v6, v[34:35], v[36:37] offset1:33
	ds_write_b64 v6, v[77:78] offset:528
	v_mov_b32_e32 v6, s9
	v_add_co_u32_e32 v54, vcc, s8, v7
	v_sub_u16_e32 v43, v1, v11
	v_sub_u16_e32 v52, v3, v15
	v_addc_co_u32_e32 v55, vcc, v6, v8, vcc
	v_lshlrev_b32_e32 v11, 4, v43
	v_lshlrev_b32_e32 v3, 4, v52
	s_waitcnt lgkmcnt(0)
	s_barrier
	global_load_dwordx4 v[7:10], v[54:55], off offset:704
	global_load_dwordx4 v[15:18], v3, s[8:9] offset:704
	v_mul_u32_u24_sdwa v3, v4, s4 dst_sel:DWORD dst_unused:UNUSED_PAD src0_sel:WORD_0 src1_sel:DWORD
	global_load_dwordx4 v[11:14], v11, s[8:9] offset:704
	v_lshrrev_b32_e32 v3, 22, v3
	v_mul_lo_u16_e32 v3, 0x63, v3
	v_sub_u16_e32 v83, v4, v3
	v_lshlrev_b32_e32 v3, 4, v83
	global_load_dwordx4 v[19:22], v3, s[8:9] offset:704
	v_mul_u32_u24_sdwa v3, v5, s4 dst_sel:DWORD dst_unused:UNUSED_PAD src0_sel:WORD_0 src1_sel:DWORD
	v_lshrrev_b32_e32 v3, 22, v3
	v_mul_lo_u16_e32 v3, 0x63, v3
	v_sub_u16_e32 v5, v5, v3
	v_lshlrev_b32_e32 v3, 4, v5
	global_load_dwordx4 v[23:26], v3, s[8:9] offset:704
	ds_read2_b64 v[27:30], v45 offset1:99
	ds_read2_b64 v[31:34], v57 offset0:82 offset1:181
	ds_read2_b64 v[35:38], v0 offset0:36 offset1:135
	;; [unrolled: 1-line block ×8, first 2 shown]
	s_waitcnt vmcnt(0) lgkmcnt(0)
	s_barrier
	v_mul_f32_e32 v84, v8, v32
	v_mul_f32_e32 v3, v8, v31
	v_fmac_f32_e32 v84, v7, v31
	v_fma_f32 v31, v7, v32, -v3
	v_mul_f32_e32 v32, v10, v36
	v_mul_f32_e32 v3, v10, v35
	v_fmac_f32_e32 v32, v9, v35
	v_fma_f32 v35, v9, v36, -v3
	;; [unrolled: 4-line block ×7, first 2 shown]
	v_mul_f32_e32 v66, v70, v18
	v_mul_f32_e32 v3, v69, v18
	v_add_f32_e32 v8, v31, v35
	v_fmac_f32_e32 v66, v69, v17
	v_fma_f32 v69, v70, v17, -v3
	v_mul_f32_e32 v70, v76, v20
	v_mul_f32_e32 v3, v75, v20
	v_fma_f32 v8, -0.5, v8, v28
	v_fmac_f32_e32 v70, v75, v19
	v_fma_f32 v75, v76, v19, -v3
	v_mul_f32_e32 v76, v80, v22
	v_mul_f32_e32 v3, v79, v22
	v_add_f32_e32 v4, v84, v32
	v_sub_f32_e32 v11, v84, v32
	v_mov_b32_e32 v10, v8
	v_add_f32_e32 v12, v36, v34
	v_fmac_f32_e32 v76, v79, v21
	v_fma_f32 v79, v80, v21, -v3
	v_mul_f32_e32 v80, v78, v24
	v_mul_f32_e32 v3, v77, v24
	v_fma_f32 v7, -0.5, v4, v27
	v_fmac_f32_e32 v10, 0x3f5db3d7, v11
	v_fmac_f32_e32 v8, 0xbf5db3d7, v11
	v_add_f32_e32 v11, v29, v36
	v_fma_f32 v29, -0.5, v12, v29
	v_add_f32_e32 v18, v63, v67
	v_fmac_f32_e32 v80, v77, v23
	v_fma_f32 v77, v78, v23, -v3
	v_mul_f32_e32 v78, v82, v26
	v_mul_f32_e32 v3, v81, v26
	v_sub_f32_e32 v4, v31, v35
	v_mov_b32_e32 v9, v7
	v_sub_f32_e32 v12, v33, v37
	v_mov_b32_e32 v13, v29
	v_add_f32_e32 v14, v33, v37
	v_add_f32_e32 v16, v38, v64
	v_fma_f32 v18, -0.5, v18, v40
	v_fmac_f32_e32 v78, v81, v25
	v_fma_f32 v81, v82, v25, -v3
	v_add_f32_e32 v3, v27, v84
	v_fmac_f32_e32 v9, 0xbf5db3d7, v4
	v_fmac_f32_e32 v7, 0x3f5db3d7, v4
	v_add_f32_e32 v4, v28, v31
	v_fmac_f32_e32 v13, 0xbf5db3d7, v12
	v_fmac_f32_e32 v29, 0x3f5db3d7, v12
	v_add_f32_e32 v12, v30, v33
	v_fmac_f32_e32 v30, -0.5, v14
	v_fma_f32 v17, -0.5, v16, v39
	v_sub_f32_e32 v21, v38, v64
	v_mov_b32_e32 v20, v18
	v_add_f32_e32 v22, v68, v66
	v_add_f32_e32 v3, v3, v32
	;; [unrolled: 1-line block ×3, first 2 shown]
	v_sub_f32_e32 v15, v36, v34
	v_mov_b32_e32 v14, v30
	v_sub_f32_e32 v16, v63, v67
	v_mov_b32_e32 v19, v17
	v_fmac_f32_e32 v20, 0x3f5db3d7, v21
	v_fmac_f32_e32 v18, 0xbf5db3d7, v21
	v_add_f32_e32 v21, v41, v68
	v_fma_f32 v41, -0.5, v22, v41
	v_add_f32_e32 v11, v11, v34
	v_add_f32_e32 v12, v12, v37
	v_fmac_f32_e32 v14, 0x3f5db3d7, v15
	v_fmac_f32_e32 v30, 0xbf5db3d7, v15
	v_add_f32_e32 v15, v39, v38
	v_fmac_f32_e32 v19, 0xbf5db3d7, v16
	v_fmac_f32_e32 v17, 0x3f5db3d7, v16
	v_add_f32_e32 v16, v40, v63
	v_sub_f32_e32 v22, v65, v69
	v_mov_b32_e32 v23, v41
	v_add_f32_e32 v24, v65, v69
	v_add_f32_e32 v28, v75, v79
	ds_write2_b64 v45, v[3:4], v[9:10] offset1:99
	ds_write2_b64 v60, v[7:8], v[11:12] offset0:70 offset1:169
	ds_write2_b64 v58, v[13:14], v[29:30] offset0:140 offset1:239
	v_lshl_add_u32 v3, v43, 3, 0
	v_add_f32_e32 v15, v15, v64
	v_add_f32_e32 v16, v16, v67
	v_fmac_f32_e32 v23, 0xbf5db3d7, v22
	v_fmac_f32_e32 v41, 0x3f5db3d7, v22
	v_add_f32_e32 v22, v42, v65
	v_fmac_f32_e32 v42, -0.5, v24
	v_add_f32_e32 v26, v70, v76
	v_fma_f32 v28, -0.5, v28, v72
	v_add_u32_e32 v4, 0x1000, v3
	v_sub_f32_e32 v25, v68, v66
	v_mov_b32_e32 v24, v42
	v_fma_f32 v27, -0.5, v26, v71
	v_sub_f32_e32 v33, v70, v76
	v_mov_b32_e32 v32, v28
	v_add_f32_e32 v34, v80, v78
	ds_write2_b64 v4, v[15:16], v[19:20] offset0:82 offset1:181
	ds_write_b64 v3, v[17:18] offset:6336
	v_lshl_add_u32 v3, v52, 3, 0
	v_add_f32_e32 v21, v21, v66
	v_add_f32_e32 v22, v22, v69
	v_fmac_f32_e32 v24, 0x3f5db3d7, v25
	v_sub_f32_e32 v26, v75, v79
	v_mov_b32_e32 v31, v27
	v_fmac_f32_e32 v32, 0x3f5db3d7, v33
	v_fmac_f32_e32 v28, 0xbf5db3d7, v33
	v_add_f32_e32 v33, v73, v80
	v_fma_f32 v73, -0.5, v34, v73
	v_add_u32_e32 v4, 0x1800, v3
	v_fmac_f32_e32 v42, 0xbf5db3d7, v25
	v_add_f32_e32 v25, v71, v70
	v_fmac_f32_e32 v31, 0xbf5db3d7, v26
	v_fmac_f32_e32 v27, 0x3f5db3d7, v26
	v_add_f32_e32 v26, v72, v75
	v_sub_f32_e32 v34, v77, v81
	v_mov_b32_e32 v35, v73
	v_add_f32_e32 v36, v77, v81
	ds_write2_b64 v4, v[21:22], v[23:24] offset0:123 offset1:222
	ds_write_b64 v3, v[41:42] offset:8712
	v_lshl_add_u32 v3, v83, 3, 0
	v_add_f32_e32 v25, v25, v76
	v_add_f32_e32 v26, v26, v79
	v_fmac_f32_e32 v35, 0xbf5db3d7, v34
	v_fmac_f32_e32 v73, 0x3f5db3d7, v34
	v_add_f32_e32 v34, v74, v77
	v_fmac_f32_e32 v74, -0.5, v36
	v_add_u32_e32 v4, 0x2400, v3
	v_sub_f32_e32 v37, v80, v78
	v_mov_b32_e32 v36, v74
	ds_write2_b64 v4, v[25:26], v[31:32] offset0:36 offset1:135
	ds_write_b64 v3, v[27:28] offset:11088
	v_lshl_add_u32 v3, v5, 3, 0
	v_add_f32_e32 v33, v33, v78
	v_add_f32_e32 v34, v34, v81
	v_fmac_f32_e32 v36, 0x3f5db3d7, v37
	v_add_u32_e32 v4, 0x2c00, v3
	v_lshlrev_b32_e32 v52, 1, v2
	v_fmac_f32_e32 v74, 0xbf5db3d7, v37
	ds_write2_b64 v4, v[33:34], v[35:36] offset0:77 offset1:176
	ds_write_b64 v3, v[73:74] offset:13464
	v_lshlrev_b64 v[2:3], 3, v[52:53]
	v_lshlrev_b32_e32 v52, 1, v1
	s_waitcnt lgkmcnt(0)
	s_barrier
	global_load_dwordx4 v[7:10], v[54:55], off offset:2288
	v_add_co_u32_e32 v2, vcc, s8, v2
	v_lshlrev_b64 v[11:12], 3, v[52:53]
	v_addc_co_u32_e32 v3, vcc, v6, v3, vcc
	global_load_dwordx4 v[2:5], v[2:3], off offset:2288
	v_add_co_u32_e32 v11, vcc, s8, v11
	v_addc_co_u32_e32 v12, vcc, v6, v12, vcc
	global_load_dwordx4 v[11:14], v[11:12], off offset:2288
	ds_read2_b64 v[15:18], v45 offset1:99
	ds_read2_b64 v[19:22], v57 offset0:82 offset1:181
	ds_read2_b64 v[23:26], v0 offset0:36 offset1:135
	;; [unrolled: 1-line block ×8, first 2 shown]
	s_waitcnt vmcnt(0) lgkmcnt(0)
	s_barrier
	v_mul_f32_e32 v43, v8, v20
	v_mul_f32_e32 v1, v8, v19
	v_fmac_f32_e32 v43, v7, v19
	v_fma_f32 v19, v7, v20, -v1
	v_mul_f32_e32 v20, v10, v24
	v_mul_f32_e32 v1, v10, v23
	v_fmac_f32_e32 v20, v9, v23
	v_fma_f32 v23, v9, v24, -v1
	;; [unrolled: 4-line block ×10, first 2 shown]
	v_add_f32_e32 v4, v19, v23
	v_fma_f32 v4, -0.5, v4, v16
	v_sub_f32_e32 v9, v43, v20
	v_mov_b32_e32 v8, v4
	v_add_f32_e32 v10, v24, v22
	v_mul_f32_e32 v63, v55, v12
	v_mul_f32_e32 v1, v54, v12
	v_fmac_f32_e32 v8, 0x3f5db3d7, v9
	v_fmac_f32_e32 v4, 0xbf5db3d7, v9
	v_add_f32_e32 v9, v17, v24
	v_fma_f32 v17, -0.5, v10, v17
	v_fmac_f32_e32 v63, v54, v11
	v_fma_f32 v54, v55, v11, -v1
	v_sub_f32_e32 v10, v21, v25
	v_mov_b32_e32 v11, v17
	v_add_f32_e32 v12, v21, v25
	v_mul_f32_e32 v55, v66, v14
	v_mul_f32_e32 v1, v65, v14
	v_add_f32_e32 v2, v43, v20
	v_fmac_f32_e32 v11, 0xbf5db3d7, v10
	v_fmac_f32_e32 v17, 0x3f5db3d7, v10
	v_add_f32_e32 v10, v18, v21
	v_fmac_f32_e32 v18, -0.5, v12
	v_fmac_f32_e32 v55, v65, v13
	v_fma_f32 v64, v66, v13, -v1
	v_fma_f32 v3, -0.5, v2, v15
	v_sub_f32_e32 v13, v24, v22
	v_mov_b32_e32 v12, v18
	v_add_f32_e32 v14, v26, v32
	v_add_f32_e32 v1, v15, v43
	v_sub_f32_e32 v2, v19, v23
	v_mov_b32_e32 v7, v3
	v_fmac_f32_e32 v12, 0x3f5db3d7, v13
	v_fmac_f32_e32 v18, 0xbf5db3d7, v13
	v_add_f32_e32 v13, v27, v26
	v_fma_f32 v15, -0.5, v14, v27
	v_sub_f32_e32 v21, v26, v32
	v_add_f32_e32 v26, v38, v53
	v_fmac_f32_e32 v7, 0xbf5db3d7, v2
	v_fmac_f32_e32 v3, 0x3f5db3d7, v2
	v_add_f32_e32 v2, v16, v19
	v_sub_f32_e32 v14, v31, v35
	v_mov_b32_e32 v19, v15
	v_fma_f32 v27, -0.5, v26, v39
	v_fmac_f32_e32 v19, 0xbf5db3d7, v14
	v_fmac_f32_e32 v15, 0x3f5db3d7, v14
	v_add_f32_e32 v14, v28, v31
	v_add_f32_e32 v16, v31, v35
	v_sub_f32_e32 v26, v52, v5
	v_mov_b32_e32 v31, v27
	v_fmac_f32_e32 v31, 0xbf5db3d7, v26
	v_fmac_f32_e32 v27, 0x3f5db3d7, v26
	v_add_f32_e32 v26, v40, v52
	v_fma_f32 v16, -0.5, v16, v28
	v_add_f32_e32 v26, v26, v5
	v_add_f32_e32 v5, v52, v5
	;; [unrolled: 1-line block ×4, first 2 shown]
	v_mov_b32_e32 v20, v16
	v_add_f32_e32 v22, v36, v34
	v_fma_f32 v28, -0.5, v5, v40
	v_add_f32_e32 v13, v13, v32
	v_fmac_f32_e32 v20, 0x3f5db3d7, v21
	v_fmac_f32_e32 v16, 0xbf5db3d7, v21
	v_add_f32_e32 v21, v29, v36
	v_fma_f32 v29, -0.5, v22, v29
	v_sub_f32_e32 v5, v38, v53
	v_mov_b32_e32 v32, v28
	v_add_f32_e32 v2, v2, v23
	v_sub_f32_e32 v22, v33, v37
	v_mov_b32_e32 v23, v29
	v_fmac_f32_e32 v32, 0x3f5db3d7, v5
	v_fmac_f32_e32 v28, 0xbf5db3d7, v5
	v_add_f32_e32 v5, v41, v63
	v_fmac_f32_e32 v23, 0xbf5db3d7, v22
	v_fmac_f32_e32 v29, 0x3f5db3d7, v22
	v_add_f32_e32 v22, v30, v33
	v_add_f32_e32 v24, v33, v37
	;; [unrolled: 1-line block ×4, first 2 shown]
	v_fma_f32 v41, -0.5, v5, v41
	v_add_f32_e32 v14, v14, v35
	v_sub_f32_e32 v5, v54, v64
	v_mov_b32_e32 v35, v41
	v_fmac_f32_e32 v35, 0xbf5db3d7, v5
	v_fmac_f32_e32 v41, 0x3f5db3d7, v5
	v_add_f32_e32 v5, v42, v54
	v_add_f32_e32 v10, v10, v25
	;; [unrolled: 1-line block ×3, first 2 shown]
	v_fmac_f32_e32 v30, -0.5, v24
	v_sub_f32_e32 v25, v36, v34
	v_add_f32_e32 v34, v5, v64
	v_add_f32_e32 v5, v54, v64
	v_mov_b32_e32 v24, v30
	v_fmac_f32_e32 v42, -0.5, v5
	v_fmac_f32_e32 v24, 0x3f5db3d7, v25
	v_fmac_f32_e32 v30, 0xbf5db3d7, v25
	v_add_f32_e32 v25, v39, v38
	v_sub_f32_e32 v5, v63, v55
	v_mov_b32_e32 v36, v42
	v_add_f32_e32 v22, v22, v37
	v_add_f32_e32 v25, v25, v53
	v_fmac_f32_e32 v36, 0x3f5db3d7, v5
	v_fmac_f32_e32 v42, 0xbf5db3d7, v5
	ds_write2_b64 v45, v[1:2], v[9:10] offset1:99
	ds_write2_b64 v57, v[3:4], v[17:18] offset0:82 offset1:181
	ds_write2_b64 v60, v[13:14], v[7:8] offset0:70 offset1:169
	;; [unrolled: 1-line block ×8, first 2 shown]
	v_add_co_u32_e32 v1, vcc, s8, v48
	v_addc_co_u32_e32 v2, vcc, v6, v49, vcc
	v_add_co_u32_e32 v1, vcc, s6, v1
	v_addc_co_u32_e32 v2, vcc, 0, v2, vcc
	v_add_co_u32_e32 v3, vcc, s8, v50
	v_addc_co_u32_e32 v4, vcc, v6, v51, vcc
	s_waitcnt lgkmcnt(0)
	s_barrier
	global_load_dwordx2 v[37:38], v[1:2], off offset:2944
	v_add_co_u32_e32 v1, vcc, s6, v3
	v_addc_co_u32_e32 v2, vcc, 0, v4, vcc
	global_load_dwordx2 v[39:40], v[1:2], off offset:3736
	v_add_co_u32_e32 v1, vcc, s10, v3
	v_addc_co_u32_e32 v2, vcc, 0, v4, vcc
	global_load_dwordx2 v[41:42], v[1:2], off offset:432
	global_load_dwordx2 v[48:49], v[1:2], off offset:1224
	;; [unrolled: 1-line block ×5, first 2 shown]
	v_add_co_u32_e32 v1, vcc, s7, v3
	v_addc_co_u32_e32 v2, vcc, 0, v4, vcc
	global_load_dwordx2 v[63:64], v[1:2], off offset:296
	global_load_dwordx2 v[65:66], v[1:2], off offset:1088
	ds_read2_b64 v[1:4], v45 offset1:99
	ds_read2_b64 v[5:8], v56 offset0:24 offset1:123
	ds_read2_b64 v[9:12], v61 offset0:94 offset1:193
	;; [unrolled: 1-line block ×8, first 2 shown]
	s_waitcnt vmcnt(0) lgkmcnt(0)
	s_barrier
	v_mul_f32_e32 v43, v38, v8
	v_fmac_f32_e32 v43, v37, v7
	v_mul_f32_e32 v7, v38, v7
	v_fma_f32 v8, v37, v8, -v7
	v_sub_f32_e32 v8, v2, v8
	v_mul_f32_e32 v7, v40, v9
	v_mul_f32_e32 v37, v40, v10
	v_fma_f32 v10, v39, v10, -v7
	v_mul_f32_e32 v7, v42, v11
	v_mul_f32_e32 v38, v42, v12
	v_fma_f32 v12, v41, v12, -v7
	v_mul_f32_e32 v7, v49, v17
	v_fmac_f32_e32 v37, v39, v9
	v_mul_f32_e32 v39, v49, v18
	v_fma_f32 v18, v48, v18, -v7
	v_mul_f32_e32 v7, v19, v51
	v_mul_f32_e32 v40, v20, v51
	v_fma_f32 v20, v20, v50, -v7
	v_mul_f32_e32 v7, v25, v53
	v_fmac_f32_e32 v38, v41, v11
	;; [unrolled: 7-line block ×3, first 2 shown]
	v_mul_f32_e32 v48, v34, v64
	v_fma_f32 v34, v34, v63, -v7
	v_mul_f32_e32 v49, v36, v66
	v_mul_f32_e32 v7, v35, v66
	v_fmac_f32_e32 v40, v19, v50
	v_fmac_f32_e32 v41, v25, v52
	;; [unrolled: 1-line block ×5, first 2 shown]
	v_fma_f32 v36, v36, v65, -v7
	v_sub_f32_e32 v7, v1, v43
	v_sub_f32_e32 v9, v3, v37
	;; [unrolled: 1-line block ×3, first 2 shown]
	v_fma_f32 v1, v1, 2.0, -v7
	v_fma_f32 v2, v2, 2.0, -v8
	;; [unrolled: 1-line block ×4, first 2 shown]
	v_sub_f32_e32 v11, v13, v38
	v_sub_f32_e32 v12, v14, v12
	;; [unrolled: 1-line block ×14, first 2 shown]
	v_fma_f32 v13, v13, 2.0, -v11
	v_fma_f32 v14, v14, 2.0, -v12
	;; [unrolled: 1-line block ×14, first 2 shown]
	ds_write2_b64 v45, v[1:2], v[3:4] offset1:99
	ds_write2_b64 v61, v[9:10], v[11:12] offset0:94 offset1:193
	ds_write2_b64 v60, v[13:14], v[15:16] offset0:70 offset1:169
	;; [unrolled: 1-line block ×8, first 2 shown]
	s_waitcnt lgkmcnt(0)
	s_barrier
	s_and_saveexec_b64 s[4:5], s[0:1]
	s_cbranch_execz .LBB0_21
; %bb.20:
	v_lshl_add_u32 v6, v44, 3, 0
	v_mov_b32_e32 v45, 0
	ds_read2_b64 v[0:3], v6 offset1:99
	v_mov_b32_e32 v4, s3
	v_add_co_u32_e32 v7, vcc, s2, v46
	v_addc_co_u32_e32 v8, vcc, v4, v47, vcc
	v_lshlrev_b64 v[4:5], 3, v[44:45]
	v_add_co_u32_e32 v4, vcc, v7, v4
	v_addc_co_u32_e32 v5, vcc, v8, v5, vcc
	s_waitcnt lgkmcnt(0)
	global_store_dwordx2 v[4:5], v[0:1], off
	v_add_u32_e32 v0, 0x63, v44
	v_mov_b32_e32 v1, v45
	v_lshlrev_b64 v[0:1], 3, v[0:1]
	v_add_u32_e32 v4, 0xc6, v44
	v_add_co_u32_e32 v0, vcc, v7, v0
	v_addc_co_u32_e32 v1, vcc, v8, v1, vcc
	global_store_dwordx2 v[0:1], v[2:3], off
	v_add_u32_e32 v0, 0x400, v6
	v_mov_b32_e32 v5, v45
	ds_read2_b64 v[0:3], v0 offset0:70 offset1:169
	v_lshlrev_b64 v[4:5], 3, v[4:5]
	v_add_co_u32_e32 v4, vcc, v7, v4
	v_addc_co_u32_e32 v5, vcc, v8, v5, vcc
	s_waitcnt lgkmcnt(0)
	global_store_dwordx2 v[4:5], v[0:1], off
	v_add_u32_e32 v0, 0x129, v44
	v_mov_b32_e32 v1, v45
	v_lshlrev_b64 v[0:1], 3, v[0:1]
	v_add_u32_e32 v4, 0x18c, v44
	v_add_co_u32_e32 v0, vcc, v7, v0
	v_addc_co_u32_e32 v1, vcc, v8, v1, vcc
	global_store_dwordx2 v[0:1], v[2:3], off
	v_add_u32_e32 v0, 0x800, v6
	v_mov_b32_e32 v5, v45
	ds_read2_b64 v[0:3], v0 offset0:140 offset1:239
	;; [unrolled: 15-line block ×8, first 2 shown]
	v_lshlrev_b64 v[4:5], 3, v[4:5]
	v_add_u32_e32 v44, 0x693, v44
	v_add_co_u32_e32 v4, vcc, v7, v4
	v_addc_co_u32_e32 v5, vcc, v8, v5, vcc
	s_waitcnt lgkmcnt(0)
	global_store_dwordx2 v[4:5], v[0:1], off
	v_lshlrev_b64 v[0:1], 3, v[44:45]
	v_add_co_u32_e32 v0, vcc, v7, v0
	v_addc_co_u32_e32 v1, vcc, v8, v1, vcc
	global_store_dwordx2 v[0:1], v[2:3], off
.LBB0_21:
	s_endpgm
	.section	.rodata,"a",@progbits
	.p2align	6, 0x0
	.amdhsa_kernel fft_rtc_back_len1782_factors_11_3_3_3_3_2_wgs_99_tpt_99_halfLds_sp_ip_CI_unitstride_sbrr_C2R_dirReg
		.amdhsa_group_segment_fixed_size 0
		.amdhsa_private_segment_fixed_size 0
		.amdhsa_kernarg_size 88
		.amdhsa_user_sgpr_count 6
		.amdhsa_user_sgpr_private_segment_buffer 1
		.amdhsa_user_sgpr_dispatch_ptr 0
		.amdhsa_user_sgpr_queue_ptr 0
		.amdhsa_user_sgpr_kernarg_segment_ptr 1
		.amdhsa_user_sgpr_dispatch_id 0
		.amdhsa_user_sgpr_flat_scratch_init 0
		.amdhsa_user_sgpr_private_segment_size 0
		.amdhsa_uses_dynamic_stack 0
		.amdhsa_system_sgpr_private_segment_wavefront_offset 0
		.amdhsa_system_sgpr_workgroup_id_x 1
		.amdhsa_system_sgpr_workgroup_id_y 0
		.amdhsa_system_sgpr_workgroup_id_z 0
		.amdhsa_system_sgpr_workgroup_info 0
		.amdhsa_system_vgpr_workitem_id 0
		.amdhsa_next_free_vgpr 99
		.amdhsa_next_free_sgpr 22
		.amdhsa_reserve_vcc 1
		.amdhsa_reserve_flat_scratch 0
		.amdhsa_float_round_mode_32 0
		.amdhsa_float_round_mode_16_64 0
		.amdhsa_float_denorm_mode_32 3
		.amdhsa_float_denorm_mode_16_64 3
		.amdhsa_dx10_clamp 1
		.amdhsa_ieee_mode 1
		.amdhsa_fp16_overflow 0
		.amdhsa_exception_fp_ieee_invalid_op 0
		.amdhsa_exception_fp_denorm_src 0
		.amdhsa_exception_fp_ieee_div_zero 0
		.amdhsa_exception_fp_ieee_overflow 0
		.amdhsa_exception_fp_ieee_underflow 0
		.amdhsa_exception_fp_ieee_inexact 0
		.amdhsa_exception_int_div_zero 0
	.end_amdhsa_kernel
	.text
.Lfunc_end0:
	.size	fft_rtc_back_len1782_factors_11_3_3_3_3_2_wgs_99_tpt_99_halfLds_sp_ip_CI_unitstride_sbrr_C2R_dirReg, .Lfunc_end0-fft_rtc_back_len1782_factors_11_3_3_3_3_2_wgs_99_tpt_99_halfLds_sp_ip_CI_unitstride_sbrr_C2R_dirReg
                                        ; -- End function
	.section	.AMDGPU.csdata,"",@progbits
; Kernel info:
; codeLenInByte = 13568
; NumSgprs: 26
; NumVgprs: 99
; ScratchSize: 0
; MemoryBound: 0
; FloatMode: 240
; IeeeMode: 1
; LDSByteSize: 0 bytes/workgroup (compile time only)
; SGPRBlocks: 3
; VGPRBlocks: 24
; NumSGPRsForWavesPerEU: 26
; NumVGPRsForWavesPerEU: 99
; Occupancy: 2
; WaveLimiterHint : 1
; COMPUTE_PGM_RSRC2:SCRATCH_EN: 0
; COMPUTE_PGM_RSRC2:USER_SGPR: 6
; COMPUTE_PGM_RSRC2:TRAP_HANDLER: 0
; COMPUTE_PGM_RSRC2:TGID_X_EN: 1
; COMPUTE_PGM_RSRC2:TGID_Y_EN: 0
; COMPUTE_PGM_RSRC2:TGID_Z_EN: 0
; COMPUTE_PGM_RSRC2:TIDIG_COMP_CNT: 0
	.type	__hip_cuid_22829272a1307f89,@object ; @__hip_cuid_22829272a1307f89
	.section	.bss,"aw",@nobits
	.globl	__hip_cuid_22829272a1307f89
__hip_cuid_22829272a1307f89:
	.byte	0                               ; 0x0
	.size	__hip_cuid_22829272a1307f89, 1

	.ident	"AMD clang version 19.0.0git (https://github.com/RadeonOpenCompute/llvm-project roc-6.4.0 25133 c7fe45cf4b819c5991fe208aaa96edf142730f1d)"
	.section	".note.GNU-stack","",@progbits
	.addrsig
	.addrsig_sym __hip_cuid_22829272a1307f89
	.amdgpu_metadata
---
amdhsa.kernels:
  - .args:
      - .actual_access:  read_only
        .address_space:  global
        .offset:         0
        .size:           8
        .value_kind:     global_buffer
      - .offset:         8
        .size:           8
        .value_kind:     by_value
      - .actual_access:  read_only
        .address_space:  global
        .offset:         16
        .size:           8
        .value_kind:     global_buffer
      - .actual_access:  read_only
        .address_space:  global
        .offset:         24
        .size:           8
        .value_kind:     global_buffer
      - .offset:         32
        .size:           8
        .value_kind:     by_value
      - .actual_access:  read_only
        .address_space:  global
        .offset:         40
        .size:           8
        .value_kind:     global_buffer
      - .actual_access:  read_only
        .address_space:  global
        .offset:         48
        .size:           8
        .value_kind:     global_buffer
      - .offset:         56
        .size:           4
        .value_kind:     by_value
      - .actual_access:  read_only
        .address_space:  global
        .offset:         64
        .size:           8
        .value_kind:     global_buffer
      - .actual_access:  read_only
        .address_space:  global
        .offset:         72
        .size:           8
        .value_kind:     global_buffer
      - .address_space:  global
        .offset:         80
        .size:           8
        .value_kind:     global_buffer
    .group_segment_fixed_size: 0
    .kernarg_segment_align: 8
    .kernarg_segment_size: 88
    .language:       OpenCL C
    .language_version:
      - 2
      - 0
    .max_flat_workgroup_size: 99
    .name:           fft_rtc_back_len1782_factors_11_3_3_3_3_2_wgs_99_tpt_99_halfLds_sp_ip_CI_unitstride_sbrr_C2R_dirReg
    .private_segment_fixed_size: 0
    .sgpr_count:     26
    .sgpr_spill_count: 0
    .symbol:         fft_rtc_back_len1782_factors_11_3_3_3_3_2_wgs_99_tpt_99_halfLds_sp_ip_CI_unitstride_sbrr_C2R_dirReg.kd
    .uniform_work_group_size: 1
    .uses_dynamic_stack: false
    .vgpr_count:     99
    .vgpr_spill_count: 0
    .wavefront_size: 64
amdhsa.target:   amdgcn-amd-amdhsa--gfx906
amdhsa.version:
  - 1
  - 2
...

	.end_amdgpu_metadata
